;; amdgpu-corpus repo=zjin-lcf/HeCBench kind=compiled arch=gfx1250 opt=O3
	.amdgcn_target "amdgcn-amd-amdhsa--gfx1250"
	.amdhsa_code_object_version 6
	.text
	.protected	_Z3mdhPKfS0_S0_S0_S0_S0_S0_S0_Pfffi ; -- Begin function _Z3mdhPKfS0_S0_S0_S0_S0_S0_S0_Pfffi
	.globl	_Z3mdhPKfS0_S0_S0_S0_S0_S0_S0_Pfffi
	.p2align	8
	.type	_Z3mdhPKfS0_S0_S0_S0_S0_S0_S0_Pfffi,@function
_Z3mdhPKfS0_S0_S0_S0_S0_S0_S0_Pfffi:    ; @_Z3mdhPKfS0_S0_S0_S0_S0_S0_S0_Pfffi
; %bb.0:
	s_clause 0x1
	s_load_b32 s2, s[0:1], 0x64
	s_load_b96 s[8:10], s[0:1], 0x48
	s_bfe_u32 s3, ttmp6, 0x4000c
	s_and_b32 s4, ttmp6, 15
	s_add_co_i32 s3, s3, 1
	s_getreg_b32 s5, hwreg(HW_REG_IB_STS2, 6, 4)
	s_mul_i32 s3, ttmp9, s3
	s_mov_b32 s28, 0
	s_add_co_i32 s4, s4, s3
	s_wait_kmcnt 0x0
	s_and_b32 s11, s2, 0xffff
	s_cmp_eq_u32 s5, 0
	s_cselect_b32 s2, ttmp9, s4
	s_cmp_lt_i32 s10, 1
	v_mad_u32 v18, s2, s11, v0
	s_delay_alu instid0(VALU_DEP_1)
	v_ashrrev_i32_e32 v19, 31, v18
	s_cbranch_scc1 .LBB0_8
; %bb.1:
	s_clause 0x1
	s_load_b256 s[12:19], s[0:1], 0x0
	s_load_b256 s[20:27], s[0:1], 0x20
	v_lshlrev_b64_e32 v[2:3], 4, v[18:19]
	s_xor_b32 s4, s9, 0x80000000
	v_mul_u32_u24_e32 v1, 20, v0
	s_mov_b32 s2, s8
	s_mov_b32 s3, s8
	;; [unrolled: 1-line block ×3, first 2 shown]
	v_dual_mov_b32 v23, s8 :: v_dual_mov_b32 v24, s4
	v_mov_b64_e32 v[26:27], s[4:5]
	v_dual_mov_b32 v25, s4 :: v_dual_add_nc_u32 v1, 0, v1
	v_mov_b32_e32 v22, s8
	s_wait_kmcnt 0x0
	v_add_nc_u64_e32 v[6:7], s[18:19], v[2:3]
	v_add_nc_u64_e32 v[8:9], s[20:21], v[2:3]
	;; [unrolled: 1-line block ×3, first 2 shown]
	global_load_b128 v[2:5], v[6:7], off
	global_load_b128 v[10:13], v[8:9], off
	;; [unrolled: 1-line block ×3, first 2 shown]
	s_wait_xcnt 0x2
	v_mov_b32_e32 v6, 0
	s_wait_xcnt 0x0
	v_mov_b64_e32 v[20:21], s[2:3]
	s_delay_alu instid0(VALU_DEP_2)
	v_dual_mov_b32 v7, v6 :: v_dual_mov_b32 v8, v6
	v_mov_b32_e32 v9, v6
	s_branch .LBB0_3
.LBB0_2:                                ;   in Loop: Header=BB0_3 Depth=1
	s_add_co_i32 s28, s11, s28
	s_delay_alu instid0(SALU_CYCLE_1)
	s_cmp_ge_i32 s28, s10
	s_barrier_signal -1
	s_barrier_wait -1
	s_cbranch_scc1 .LBB0_9
.LBB0_3:                                ; =>This Loop Header: Depth=1
                                        ;     Child Loop BB0_7 Depth 2
	v_add_nc_u32_e32 v28, s28, v0
	s_mov_b32 s2, exec_lo
	s_delay_alu instid0(VALU_DEP_1)
	v_cmpx_gt_i32_e64 s10, v28
	s_cbranch_execz .LBB0_5
; %bb.4:                                ;   in Loop: Header=BB0_3 Depth=1
	s_clause 0x4
	global_load_b32 v29, v28, s[12:13] scale_offset
	global_load_b32 v30, v28, s[14:15] scale_offset
	;; [unrolled: 1-line block ×5, first 2 shown]
	s_wait_loadcnt 0x3
	ds_store_2addr_b32 v1, v29, v30 offset1:1
	s_wait_loadcnt 0x1
	ds_store_2addr_b32 v1, v31, v32 offset0:2 offset1:3
	s_wait_loadcnt 0x0
	ds_store_b32 v1, v33 offset:16
.LBB0_5:                                ;   in Loop: Header=BB0_3 Depth=1
	s_or_b32 exec_lo, exec_lo, s2
	s_add_co_i32 s2, s11, s28
	s_sub_co_i32 s3, s10, s28
	s_cmp_gt_i32 s2, s10
	s_wait_loadcnt_dscnt 0x0
	s_cselect_b32 s11, s3, s11
	s_barrier_signal -1
	s_cmp_lt_i32 s11, 1
	s_barrier_wait -1
	s_cbranch_scc1 .LBB0_2
; %bb.6:                                ;   in Loop: Header=BB0_3 Depth=1
	s_mov_b32 s18, 0
	s_mov_b32 s19, 0
.LBB0_7:                                ;   Parent Loop BB0_3 Depth=1
                                        ; =>  This Inner Loop Header: Depth=2
	s_delay_alu instid0(SALU_CYCLE_1)
	v_mov_b32_e32 v32, s19
	s_add_co_i32 s18, s18, 1
	s_add_co_i32 s19, s19, 20
	s_cmp_ge_i32 s18, s11
	ds_load_2addr_b32 v[30:31], v32 offset1:1
	ds_load_2addr_b32 v[28:29], v32 offset0:2 offset1:3
	ds_load_b32 v42, v32 offset:16
	s_wait_dscnt 0x2
	v_dual_sub_f32 v34, v2, v30 :: v_dual_sub_f32 v37, v11, v31
	v_dual_sub_f32 v36, v10, v31 :: v_dual_sub_f32 v39, v13, v31
	;; [unrolled: 1-line block ×3, first 2 shown]
	s_wait_dscnt 0x1
	v_dual_sub_f32 v38, v12, v31 :: v_dual_sub_f32 v31, v15, v28
	s_delay_alu instid0(VALU_DEP_3) | instskip(SKIP_2) | instid1(VALU_DEP_4)
	v_pk_mul_f32 v[36:37], v[36:37], v[36:37]
	v_dual_sub_f32 v33, v5, v30 :: v_dual_sub_f32 v30, v14, v28
	v_sub_f32_e32 v41, v17, v28
	v_pk_mul_f32 v[38:39], v[38:39], v[38:39]
	s_delay_alu instid0(VALU_DEP_4) | instskip(NEXT) | instid1(VALU_DEP_2)
	v_pk_fma_f32 v[34:35], v[34:35], v[34:35], v[36:37]
	v_pk_fma_f32 v[32:33], v[32:33], v[32:33], v[38:39]
	s_delay_alu instid0(VALU_DEP_2) | instskip(SKIP_3) | instid1(VALU_DEP_3)
	v_pk_fma_f32 v[30:31], v[30:31], v[30:31], v[34:35]
	v_sub_f32_e32 v40, v16, v28
	s_wait_dscnt 0x0
	v_fma_f32 v28, s9, v42, 1.0
	v_mul_f32_e32 v35, 0x4f800000, v31
	s_delay_alu instid0(VALU_DEP_3) | instskip(SKIP_3) | instid1(VALU_DEP_4)
	v_pk_fma_f32 v[32:33], v[40:41], v[40:41], v[32:33]
	v_mul_f32_e32 v34, 0x4f800000, v30
	v_cmp_gt_f32_e32 vcc_lo, 0xf800000, v31
	v_cmp_gt_f32_e64 s4, 0xf800000, v30
	v_mul_f32_e32 v36, 0x4f800000, v32
	v_cmp_gt_f32_e64 s2, 0xf800000, v32
	v_mul_f32_e32 v37, 0x4f800000, v33
	s_delay_alu instid0(VALU_DEP_4) | instskip(SKIP_1) | instid1(VALU_DEP_4)
	v_dual_cndmask_b32 v31, v31, v35, vcc_lo :: v_dual_cndmask_b32 v30, v30, v34, s4
	v_cmp_gt_f32_e64 s3, 0xf800000, v33
	v_cndmask_b32_e64 v32, v32, v36, s2
	s_delay_alu instid0(VALU_DEP_3) | instskip(NEXT) | instid1(VALU_DEP_3)
	v_sqrt_f32_e32 v35, v31
	v_sqrt_f32_e32 v34, v30
	s_delay_alu instid0(VALU_DEP_2) | instskip(NEXT) | instid1(VALU_DEP_2)
	v_cndmask_b32_e64 v33, v33, v37, s3
	v_sqrt_f32_e32 v36, v32
	s_delay_alu instid0(TRANS32_DEP_2) | instskip(SKIP_1) | instid1(VALU_DEP_3)
	v_dual_add_nc_u32 v40, -1, v35 :: v_dual_add_nc_u32 v39, 1, v34
	v_add_nc_u32_e32 v38, -1, v34
	v_sqrt_f32_e32 v37, v33
	s_delay_alu instid0(TRANS32_DEP_2) | instskip(NEXT) | instid1(VALU_DEP_2)
	v_dual_add_nc_u32 v41, 1, v35 :: v_dual_add_nc_u32 v43, -1, v36
	v_dual_add_nc_u32 v44, 1, v36 :: v_dual_fma_f32 v47, -v38, v34, v30
	v_dual_fma_f32 v48, -v39, v34, v30 :: v_dual_fma_f32 v49, -v40, v35, v31
	s_delay_alu instid0(TRANS32_DEP_1) | instskip(NEXT) | instid1(VALU_DEP_4)
	v_dual_add_nc_u32 v46, 1, v37 :: v_dual_add_nc_u32 v45, -1, v37
	v_dual_fma_f32 v50, -v41, v35, v31 :: v_dual_fma_f32 v51, -v43, v36, v32
	s_delay_alu instid0(VALU_DEP_4) | instskip(NEXT) | instid1(VALU_DEP_3)
	v_cmp_ge_f32_e64 s5, 0, v47
	v_dual_fma_f32 v52, -v44, v36, v32 :: v_dual_fma_f32 v53, -v45, v37, v33
	v_cmp_lt_f32_e64 s8, 0, v48
	s_delay_alu instid0(VALU_DEP_4) | instskip(NEXT) | instid1(VALU_DEP_4)
	v_cmp_ge_f32_e64 s6, 0, v51
	v_cndmask_b32_e64 v34, v34, v38, s5
	v_cmp_ge_f32_e64 s5, 0, v49
	v_fma_f32 v54, -v46, v37, v33
	v_cmp_ge_f32_e64 s7, 0, v53
	v_cndmask_b32_e64 v36, v36, v43, s6
	s_delay_alu instid0(VALU_DEP_4) | instskip(SKIP_1) | instid1(VALU_DEP_4)
	v_dual_cndmask_b32 v34, v34, v39, s8 :: v_dual_cndmask_b32 v35, v35, v40, s5
	v_cmp_lt_f32_e64 s5, 0, v50
	v_cndmask_b32_e64 v37, v37, v45, s7
	v_cmp_lt_f32_e64 s7, 0, v54
	v_cmp_lt_f32_e64 s6, 0, v52
	s_delay_alu instid0(VALU_DEP_2) | instskip(NEXT) | instid1(VALU_DEP_1)
	v_dual_cndmask_b32 v35, v35, v41, s5 :: v_dual_cndmask_b32 v37, v37, v46, s7
	v_dual_mul_f32 v38, 0x37800000, v34 :: v_dual_mul_f32 v39, 0x37800000, v35
	s_delay_alu instid0(VALU_DEP_1) | instskip(NEXT) | instid1(VALU_DEP_3)
	v_dual_cndmask_b32 v36, v36, v44, s6 :: v_dual_cndmask_b32 v34, v34, v38, s4
	v_mul_f32_e32 v40, 0x37800000, v37
	v_cmp_class_f32_e64 s4, v30, 0x260
	s_delay_alu instid0(VALU_DEP_3)
	v_mul_f32_e32 v41, 0x37800000, v36
	v_cndmask_b32_e32 v35, v35, v39, vcc_lo
	v_cmp_class_f32_e64 vcc_lo, v31, 0x260
	v_cndmask_b32_e64 v37, v37, v40, s3
	v_cmp_class_f32_e64 s3, v33, 0x260
	v_dual_cndmask_b32 v36, v36, v41, s2 :: v_dual_cndmask_b32 v38, v34, v30, s4
	v_cmp_class_f32_e64 s2, v32, 0x260
	s_delay_alu instid0(VALU_DEP_3) | instskip(NEXT) | instid1(VALU_DEP_2)
	v_dual_cndmask_b32 v39, v35, v31, vcc_lo :: v_dual_cndmask_b32 v37, v37, v33, s3
	v_dual_sub_f32 v30, v38, v42 :: v_dual_cndmask_b32 v36, v36, v32, s2
	s_delay_alu instid0(VALU_DEP_2) | instskip(NEXT) | instid1(VALU_DEP_3)
	v_sub_f32_e32 v31, v39, v42
	v_div_scale_f32 v34, null, v37, v37, v29
	v_div_scale_f32 v43, null, v39, v39, v29
	s_delay_alu instid0(VALU_DEP_4)
	v_div_scale_f32 v40, null, v36, v36, v29
	v_sub_f32_e32 v33, v37, v42
	v_pk_mul_f32 v[30:31], v[26:27], v[30:31]
	v_sub_f32_e32 v32, v36, v42
	v_div_scale_f32 v45, null, v38, v38, v29
	v_rcp_f32_e32 v46, v34
	v_rcp_f32_e32 v47, v40
	;; [unrolled: 1-line block ×3, first 2 shown]
	v_mul_f32_e32 v51, 0x3fb8aa3b, v31
	v_pk_mul_f32 v[32:33], v[24:25], v[32:33]
	v_rcp_f32_e32 v49, v45
	v_mul_f32_e32 v50, 0x3fb8aa3b, v30
	v_fma_f32 v54, -v34, v46, 1.0
	v_fma_f32 v55, -v40, v47, 1.0
	v_dual_mul_f32 v52, 0x3fb8aa3b, v32 :: v_dual_mul_f32 v53, 0x3fb8aa3b, v33
	v_fma_f32 v56, -v43, v48, 1.0
	v_div_scale_f32 v35, vcc_lo, v29, v37, v29
	v_fma_f32 v57, -v45, v49, 1.0
	v_fma_f32 v58, 0x3fb8aa3b, v30, -v50
	v_rndne_f32_e32 v59, v50
	v_fma_f32 v60, 0x3fb8aa3b, v31, -v51
	v_rndne_f32_e32 v61, v51
	v_dual_fmac_f32 v46, v54, v46 :: v_dual_fmac_f32 v48, v56, v48
	v_fmac_f32_e32 v47, v55, v47
	v_fma_f32 v62, 0x3fb8aa3b, v32, -v52
	v_rndne_f32_e32 v54, v52
	v_fma_f32 v55, 0x3fb8aa3b, v33, -v53
	v_rndne_f32_e32 v56, v53
	v_div_scale_f32 v41, s2, v29, v36, v29
	v_dual_fmac_f32 v49, v57, v49 :: v_dual_fmac_f32 v58, 0x32a5705f, v30
	v_dual_sub_f32 v50, v50, v59 :: v_dual_sub_f32 v51, v51, v61
	v_cvt_i32_f32_e32 v57, v59
	v_dual_fmac_f32 v60, 0x32a5705f, v31 :: v_dual_fmac_f32 v55, 0x32a5705f, v33
	v_cvt_i32_f32_e32 v59, v61
	v_dual_fmac_f32 v62, 0x32a5705f, v32 :: v_dual_mul_f32 v61, v35, v46
	v_dual_sub_f32 v52, v52, v54 :: v_dual_sub_f32 v53, v53, v56
	v_div_scale_f32 v44, s3, v29, v39, v29
	v_dual_add_f32 v50, v50, v58 :: v_dual_mul_f32 v58, v41, v47
	s_delay_alu instid0(VALU_DEP_3) | instskip(SKIP_2) | instid1(VALU_DEP_2)
	v_dual_add_f32 v53, v53, v55 :: v_dual_fma_f32 v55, -v34, v61, v35
	v_div_scale_f32 v42, s4, v29, v38, v29
	v_dual_add_f32 v51, v51, v60 :: v_dual_add_f32 v52, v52, v62
	v_dual_mul_f32 v60, v44, v48 :: v_dual_mul_f32 v62, v42, v49
	s_delay_alu instid0(VALU_DEP_4)
	v_fmac_f32_e32 v61, v55, v46
	v_fma_f32 v55, -v40, v58, v41
	v_exp_f32_e32 v50, v50
	v_exp_f32_e32 v51, v51
	;; [unrolled: 1-line block ×4, first 2 shown]
	v_fmac_f32_e32 v58, v55, v47
	v_dual_fma_f32 v55, -v43, v60, v44 :: v_dual_fma_f32 v34, -v34, v61, v35
	v_cvt_i32_f32_e32 v54, v54
	v_cvt_i32_f32_e32 v56, v56
	s_delay_alu instid0(VALU_DEP_3)
	v_dual_fma_f32 v35, -v40, v58, v41 :: v_dual_fmac_f32 v60, v55, v48
	v_fma_f32 v55, -v45, v62, v42
	v_cmp_ngt_f32_e64 s5, 0xc2ce8ed0, v30
	v_cmp_ngt_f32_e64 s6, 0xc2ce8ed0, v31
	;; [unrolled: 1-line block ×4, first 2 shown]
	v_fmac_f32_e32 v62, v55, v49
	v_fma_f32 v40, -v43, v60, v44
	v_ldexp_f32 v43, v51, v59
	v_ldexp_f32 v44, v52, v54
	v_div_fmas_f32 v34, v34, v46, v61
	v_fma_f32 v41, -v45, v62, v42
	v_ldexp_f32 v42, v50, v57
	v_ldexp_f32 v45, v53, v56
	s_mov_b32 vcc_lo, s2
	s_delay_alu instid0(VALU_DEP_2)
	v_cndmask_b32_e64 v42, 0, v42, s5
	v_cmp_nlt_f32_e64 s5, 0x42b17218, v30
	v_dual_cndmask_b32 v30, 0, v43, s6 :: v_dual_cndmask_b32 v43, 0, v44, s7
	v_cndmask_b32_e64 v44, 0, v45, s8
	v_div_fmas_f32 v45, v35, v47, v58
	s_mov_b32 vcc_lo, s3
	v_cmp_nlt_f32_e64 s6, 0x42b17218, v31
	v_div_fmas_f32 v40, v40, v48, v60
	s_mov_b32 vcc_lo, s4
	v_cmp_nlt_f32_e64 s7, 0x42b17218, v32
	v_div_fmas_f32 v41, v41, v49, v62
	v_cmp_nlt_f32_e64 s8, 0x42b17218, v33
	v_div_fixup_f32 v31, v34, v37, v29
	v_cndmask_b32_e64 v33, 0x7f800000, v30, s6
	v_div_fixup_f32 v30, v45, v36, v29
	v_div_fixup_f32 v37, v40, v39, v29
	;; [unrolled: 1-line block ×3, first 2 shown]
	v_cndmask_b32_e64 v32, 0x7f800000, v42, s5
	v_cndmask_b32_e64 v34, 0x7f800000, v43, s7
	;; [unrolled: 1-line block ×3, first 2 shown]
	v_pk_mul_f32 v[30:31], v[22:23], v[30:31]
	v_pk_mul_f32 v[36:37], v[20:21], v[36:37]
	s_delay_alu instid0(VALU_DEP_2) | instskip(NEXT) | instid1(VALU_DEP_2)
	v_pk_mul_f32 v[30:31], v[30:31], v[34:35]
	v_pk_mul_f32 v[32:33], v[36:37], v[32:33]
	s_delay_alu instid0(VALU_DEP_2) | instskip(NEXT) | instid1(VALU_DEP_3)
	v_div_scale_f32 v29, null, v28, v28, v31
	v_div_scale_f32 v35, null, v28, v28, v30
	s_delay_alu instid0(VALU_DEP_3) | instskip(NEXT) | instid1(VALU_DEP_4)
	v_div_scale_f32 v37, null, v28, v28, v33
	v_div_scale_f32 v39, null, v28, v28, v32
	s_delay_alu instid0(VALU_DEP_4) | instskip(NEXT) | instid1(VALU_DEP_3)
	v_rcp_f32_e32 v41, v29
	v_rcp_f32_e32 v42, v35
	s_delay_alu instid0(VALU_DEP_2) | instskip(NEXT) | instid1(VALU_DEP_1)
	v_rcp_f32_e32 v43, v37
	v_rcp_f32_e32 v44, v39
	v_div_scale_f32 v34, s2, v31, v28, v31
	v_div_scale_f32 v36, s3, v30, v28, v30
	v_fma_f32 v45, -v29, v41, 1.0
	s_delay_alu instid0(TRANS32_DEP_3) | instskip(NEXT) | instid1(TRANS32_DEP_2)
	v_fma_f32 v46, -v35, v42, 1.0
	v_fma_f32 v47, -v37, v43, 1.0
	s_delay_alu instid0(TRANS32_DEP_1) | instskip(SKIP_1) | instid1(VALU_DEP_3)
	v_fma_f32 v48, -v39, v44, 1.0
	v_div_scale_f32 v38, vcc_lo, v33, v28, v33
	v_dual_fmac_f32 v41, v45, v41 :: v_dual_fmac_f32 v43, v47, v43
	v_fmac_f32_e32 v42, v46, v42
	v_div_scale_f32 v40, s4, v32, v28, v32
	s_delay_alu instid0(VALU_DEP_3) | instskip(NEXT) | instid1(VALU_DEP_3)
	v_dual_fmac_f32 v44, v48, v44 :: v_dual_mul_f32 v45, v34, v41
	v_dual_mul_f32 v46, v36, v42 :: v_dual_mul_f32 v47, v38, v43
	s_delay_alu instid0(VALU_DEP_2) | instskip(NEXT) | instid1(VALU_DEP_2)
	v_dual_mul_f32 v48, v40, v44 :: v_dual_fma_f32 v49, -v29, v45, v34
	v_dual_fma_f32 v50, -v35, v46, v36 :: v_dual_fma_f32 v51, -v37, v47, v38
	s_delay_alu instid0(VALU_DEP_2) | instskip(NEXT) | instid1(VALU_DEP_2)
	v_dual_fma_f32 v52, -v39, v48, v40 :: v_dual_fmac_f32 v45, v49, v41
	v_dual_fmac_f32 v46, v50, v42 :: v_dual_fmac_f32 v47, v51, v43
	s_delay_alu instid0(VALU_DEP_2) | instskip(NEXT) | instid1(VALU_DEP_2)
	v_dual_fmac_f32 v48, v52, v44 :: v_dual_fma_f32 v29, -v29, v45, v34
	v_dual_fma_f32 v34, -v35, v46, v36 :: v_dual_fma_f32 v35, -v37, v47, v38
	s_delay_alu instid0(VALU_DEP_2) | instskip(NEXT) | instid1(VALU_DEP_2)
	v_fma_f32 v36, -v39, v48, v40
	v_div_fmas_f32 v35, v35, v43, v47
	s_mov_b32 vcc_lo, s4
	s_delay_alu instid0(VALU_DEP_2) | instskip(SKIP_1) | instid1(VALU_DEP_2)
	v_div_fmas_f32 v36, v36, v44, v48
	s_mov_b32 vcc_lo, s2
	v_div_fixup_f32 v33, v35, v28, v33
	v_div_fmas_f32 v29, v29, v41, v45
	s_mov_b32 vcc_lo, s3
	v_div_fixup_f32 v32, v36, v28, v32
	v_div_fmas_f32 v34, v34, v42, v46
	s_delay_alu instid0(VALU_DEP_3) | instskip(NEXT) | instid1(VALU_DEP_3)
	v_div_fixup_f32 v29, v29, v28, v31
	v_pk_add_f32 v[6:7], v[6:7], v[32:33]
	s_delay_alu instid0(VALU_DEP_3) | instskip(NEXT) | instid1(VALU_DEP_1)
	v_div_fixup_f32 v28, v34, v28, v30
	v_pk_add_f32 v[8:9], v[8:9], v[28:29]
	s_cbranch_scc0 .LBB0_7
	s_branch .LBB0_2
.LBB0_8:
	v_mov_b32_e32 v6, 0
	s_delay_alu instid0(VALU_DEP_1)
	v_dual_mov_b32 v7, v6 :: v_dual_mov_b32 v8, v6
	v_mov_b32_e32 v9, v6
.LBB0_9:
	s_load_b64 s[0:1], s[0:1], 0x40
	s_wait_kmcnt 0x0
	v_lshl_add_u64 v[0:1], v[18:19], 4, s[0:1]
	global_store_b128 v[0:1], v[6:9], off
	s_endpgm
	.section	.rodata,"a",@progbits
	.p2align	6, 0x0
	.amdhsa_kernel _Z3mdhPKfS0_S0_S0_S0_S0_S0_S0_Pfffi
		.amdhsa_group_segment_fixed_size 0
		.amdhsa_private_segment_fixed_size 0
		.amdhsa_kernarg_size 344
		.amdhsa_user_sgpr_count 2
		.amdhsa_user_sgpr_dispatch_ptr 0
		.amdhsa_user_sgpr_queue_ptr 0
		.amdhsa_user_sgpr_kernarg_segment_ptr 1
		.amdhsa_user_sgpr_dispatch_id 0
		.amdhsa_user_sgpr_kernarg_preload_length 0
		.amdhsa_user_sgpr_kernarg_preload_offset 0
		.amdhsa_user_sgpr_private_segment_size 0
		.amdhsa_wavefront_size32 1
		.amdhsa_uses_dynamic_stack 0
		.amdhsa_enable_private_segment 0
		.amdhsa_system_sgpr_workgroup_id_x 1
		.amdhsa_system_sgpr_workgroup_id_y 0
		.amdhsa_system_sgpr_workgroup_id_z 0
		.amdhsa_system_sgpr_workgroup_info 0
		.amdhsa_system_vgpr_workitem_id 0
		.amdhsa_next_free_vgpr 63
		.amdhsa_next_free_sgpr 29
		.amdhsa_named_barrier_count 0
		.amdhsa_reserve_vcc 1
		.amdhsa_float_round_mode_32 0
		.amdhsa_float_round_mode_16_64 0
		.amdhsa_float_denorm_mode_32 3
		.amdhsa_float_denorm_mode_16_64 3
		.amdhsa_fp16_overflow 0
		.amdhsa_memory_ordered 1
		.amdhsa_forward_progress 1
		.amdhsa_inst_pref_size 19
		.amdhsa_round_robin_scheduling 0
		.amdhsa_exception_fp_ieee_invalid_op 0
		.amdhsa_exception_fp_denorm_src 0
		.amdhsa_exception_fp_ieee_div_zero 0
		.amdhsa_exception_fp_ieee_overflow 0
		.amdhsa_exception_fp_ieee_underflow 0
		.amdhsa_exception_fp_ieee_inexact 0
		.amdhsa_exception_int_div_zero 0
	.end_amdhsa_kernel
	.text
.Lfunc_end0:
	.size	_Z3mdhPKfS0_S0_S0_S0_S0_S0_S0_Pfffi, .Lfunc_end0-_Z3mdhPKfS0_S0_S0_S0_S0_S0_S0_Pfffi
                                        ; -- End function
	.set _Z3mdhPKfS0_S0_S0_S0_S0_S0_S0_Pfffi.num_vgpr, 63
	.set _Z3mdhPKfS0_S0_S0_S0_S0_S0_S0_Pfffi.num_agpr, 0
	.set _Z3mdhPKfS0_S0_S0_S0_S0_S0_S0_Pfffi.numbered_sgpr, 29
	.set _Z3mdhPKfS0_S0_S0_S0_S0_S0_S0_Pfffi.num_named_barrier, 0
	.set _Z3mdhPKfS0_S0_S0_S0_S0_S0_S0_Pfffi.private_seg_size, 0
	.set _Z3mdhPKfS0_S0_S0_S0_S0_S0_S0_Pfffi.uses_vcc, 1
	.set _Z3mdhPKfS0_S0_S0_S0_S0_S0_S0_Pfffi.uses_flat_scratch, 0
	.set _Z3mdhPKfS0_S0_S0_S0_S0_S0_S0_Pfffi.has_dyn_sized_stack, 0
	.set _Z3mdhPKfS0_S0_S0_S0_S0_S0_S0_Pfffi.has_recursion, 0
	.set _Z3mdhPKfS0_S0_S0_S0_S0_S0_S0_Pfffi.has_indirect_call, 0
	.section	.AMDGPU.csdata,"",@progbits
; Kernel info:
; codeLenInByte = 2364
; TotalNumSgprs: 31
; NumVgprs: 63
; ScratchSize: 0
; MemoryBound: 0
; FloatMode: 240
; IeeeMode: 1
; LDSByteSize: 0 bytes/workgroup (compile time only)
; SGPRBlocks: 0
; VGPRBlocks: 3
; NumSGPRsForWavesPerEU: 31
; NumVGPRsForWavesPerEU: 63
; NamedBarCnt: 0
; Occupancy: 16
; WaveLimiterHint : 0
; COMPUTE_PGM_RSRC2:SCRATCH_EN: 0
; COMPUTE_PGM_RSRC2:USER_SGPR: 2
; COMPUTE_PGM_RSRC2:TRAP_HANDLER: 0
; COMPUTE_PGM_RSRC2:TGID_X_EN: 1
; COMPUTE_PGM_RSRC2:TGID_Y_EN: 0
; COMPUTE_PGM_RSRC2:TGID_Z_EN: 0
; COMPUTE_PGM_RSRC2:TIDIG_COMP_CNT: 0
	.text
	.protected	_Z4mdh2PKfS0_S0_S0_S0_S0_S0_S0_Pfffi ; -- Begin function _Z4mdh2PKfS0_S0_S0_S0_S0_S0_S0_Pfffi
	.globl	_Z4mdh2PKfS0_S0_S0_S0_S0_S0_S0_Pfffi
	.p2align	8
	.type	_Z4mdh2PKfS0_S0_S0_S0_S0_S0_S0_Pfffi,@function
_Z4mdh2PKfS0_S0_S0_S0_S0_S0_S0_Pfffi:   ; @_Z4mdh2PKfS0_S0_S0_S0_S0_S0_S0_Pfffi
; %bb.0:
	s_clause 0x1
	s_load_b32 s2, s[0:1], 0x64
	s_load_b96 s[20:22], s[0:1], 0x48
	s_bfe_u32 s3, ttmp6, 0x4000c
	s_and_b32 s4, ttmp6, 15
	s_add_co_i32 s3, s3, 1
	s_getreg_b32 s5, hwreg(HW_REG_IB_STS2, 6, 4)
	s_mul_i32 s6, ttmp9, s3
	s_delay_alu instid0(SALU_CYCLE_1)
	s_add_co_i32 s4, s4, s6
	s_wait_kmcnt 0x0
	s_and_b32 s3, s2, 0xffff
	s_cmp_eq_u32 s5, 0
	s_cselect_b32 s2, ttmp9, s4
	s_cmp_lt_i32 s22, 1
	v_mad_u32 v18, s2, s3, v0
	s_delay_alu instid0(VALU_DEP_1)
	v_ashrrev_i32_e32 v19, 31, v18
	s_cbranch_scc1 .LBB1_8
; %bb.1:
	s_clause 0x1
	s_load_b256 s[4:11], s[0:1], 0x0
	s_load_b256 s[12:19], s[0:1], 0x20
	v_lshlrev_b64_e32 v[2:3], 4, v[18:19]
	v_lshl_add_u32 v1, v0, 2, 0
	v_dual_mov_b32 v22, s20 :: v_dual_mov_b32 v23, s20
	s_wait_kmcnt 0x0
	s_delay_alu instid0(VALU_DEP_3)
	v_add_nc_u64_e32 v[10:11], s[10:11], v[2:3]
	v_add_nc_u64_e32 v[12:13], s[12:13], v[2:3]
	;; [unrolled: 1-line block ×3, first 2 shown]
	global_load_b128 v[2:5], v[10:11], off
	global_load_b128 v[6:9], v[12:13], off
	;; [unrolled: 1-line block ×3, first 2 shown]
	s_xor_b32 s12, s21, 0x80000000
	s_wait_xcnt 0x2
	v_mov_b32_e32 v10, 0
	s_mov_b32 s10, s20
	s_mov_b32 s11, s20
	;; [unrolled: 1-line block ×3, first 2 shown]
	s_wait_xcnt 0x0
	v_mov_b64_e32 v[20:21], s[10:11]
	v_mov_b64_e32 v[26:27], s[12:13]
	v_dual_mov_b32 v11, v10 :: v_dual_mov_b32 v12, v10
	v_dual_mov_b32 v13, v10 :: v_dual_mov_b32 v24, s12
	v_mov_b32_e32 v25, s12
	s_mov_b32 s10, 0
	s_branch .LBB1_3
.LBB1_2:                                ;   in Loop: Header=BB1_3 Depth=1
	s_add_co_i32 s10, s3, s10
	s_delay_alu instid0(SALU_CYCLE_1)
	s_cmp_ge_i32 s10, s22
	s_barrier_signal -1
	s_barrier_wait -1
	s_cbranch_scc1 .LBB1_9
.LBB1_3:                                ; =>This Loop Header: Depth=1
                                        ;     Child Loop BB1_7 Depth 2
	s_add_co_i32 s2, s3, s10
	v_add_nc_u32_e32 v28, s10, v0
	s_sub_co_i32 s11, s22, s10
	s_cmp_gt_i32 s2, s22
	s_cselect_b32 s3, s11, s3
	s_mov_b32 s11, exec_lo
	v_cmpx_gt_i32_e64 s22, v28
	s_cbranch_execz .LBB1_5
; %bb.4:                                ;   in Loop: Header=BB1_3 Depth=1
	s_clause 0x4
	global_load_b32 v29, v28, s[4:5] scale_offset
	global_load_b32 v30, v28, s[6:7] scale_offset
	;; [unrolled: 1-line block ×5, first 2 shown]
	s_wait_xcnt 0x0
	v_mad_u32 v28, s3, 12, v1
	v_lshl_add_u32 v34, s3, 2, v1
	v_lshl_add_u32 v35, s3, 3, v1
	;; [unrolled: 1-line block ×3, first 2 shown]
	s_wait_loadcnt 0x4
	ds_store_b32 v1, v29
	s_wait_loadcnt 0x3
	ds_store_b32 v34, v30
	;; [unrolled: 2-line block ×5, first 2 shown]
.LBB1_5:                                ;   in Loop: Header=BB1_3 Depth=1
	s_or_b32 exec_lo, exec_lo, s11
	s_cmp_lt_i32 s3, 1
	s_wait_loadcnt_dscnt 0x0
	s_barrier_signal -1
	s_barrier_wait -1
	s_cbranch_scc1 .LBB1_2
; %bb.6:                                ;   in Loop: Header=BB1_3 Depth=1
	s_min_i32 s2, s22, s2
	s_lshl_b32 s14, s10, 2
	s_lshl_b32 s2, s2, 2
	;; [unrolled: 1-line block ×3, first 2 shown]
	s_mul_i32 s12, s3, 12
	s_lshl_b32 s13, s3, 4
	s_sub_co_i32 s14, s2, s14
	s_mov_b32 s15, 0
	s_mov_b32 s20, 0
.LBB1_7:                                ;   Parent Loop BB1_3 Depth=1
                                        ; =>  This Inner Loop Header: Depth=2
	s_delay_alu instid0(SALU_CYCLE_1) | instskip(NEXT) | instid1(SALU_CYCLE_1)
	s_add_co_i32 s2, s20, s14
	v_dual_mov_b32 v28, s20 :: v_dual_mov_b32 v32, s2
	s_add_co_i32 s2, s20, s11
	s_add_co_i32 s15, s15, 1
	v_mov_b32_e32 v36, s2
	ds_load_b32 v30, v28
	ds_load_b32 v34, v32
	;; [unrolled: 1-line block ×3, first 2 shown]
	s_wait_dscnt 0x2
	v_sub_f32_e32 v29, v5, v30
	s_wait_dscnt 0x1
	v_dual_sub_f32 v33, v7, v34 :: v_dual_sub_f32 v32, v6, v34
	v_sub_f32_e32 v35, v9, v34
	v_dual_sub_f32 v28, v4, v30 :: v_dual_sub_f32 v31, v3, v30
	v_sub_f32_e32 v30, v2, v30
	s_delay_alu instid0(VALU_DEP_4) | instskip(SKIP_3) | instid1(VALU_DEP_3)
	v_pk_mul_f32 v[32:33], v[32:33], v[32:33]
	s_wait_dscnt 0x0
	v_dual_sub_f32 v37, v15, v38 :: v_dual_sub_f32 v36, v14, v38
	v_sub_f32_e32 v39, v17, v38
	v_pk_fma_f32 v[30:31], v[30:31], v[30:31], v[32:33]
	s_delay_alu instid0(VALU_DEP_1) | instskip(NEXT) | instid1(VALU_DEP_1)
	v_pk_fma_f32 v[30:31], v[36:37], v[36:37], v[30:31]
	v_cmp_gt_f32_e32 vcc_lo, 0xf800000, v30
	v_mul_f32_e32 v32, 0x4f800000, v30
	s_delay_alu instid0(VALU_DEP_1) | instskip(NEXT) | instid1(VALU_DEP_1)
	v_dual_sub_f32 v34, v8, v34 :: v_dual_cndmask_b32 v30, v30, v32, vcc_lo
	v_pk_mul_f32 v[34:35], v[34:35], v[34:35]
	s_delay_alu instid0(VALU_DEP_2) | instskip(NEXT) | instid1(VALU_DEP_1)
	v_sqrt_f32_e32 v32, v30
	v_pk_fma_f32 v[28:29], v[28:29], v[28:29], v[34:35]
	s_delay_alu instid0(TRANS32_DEP_1) | instskip(NEXT) | instid1(VALU_DEP_1)
	v_dual_sub_f32 v38, v16, v38 :: v_dual_add_nc_u32 v33, -1, v32
	v_fma_f32 v34, -v33, v32, v30
	s_delay_alu instid0(VALU_DEP_2) | instskip(NEXT) | instid1(VALU_DEP_2)
	v_pk_fma_f32 v[28:29], v[38:39], v[38:39], v[28:29]
	v_cmp_ge_f32_e64 s2, 0, v34
	s_delay_alu instid0(VALU_DEP_1) | instskip(NEXT) | instid1(VALU_DEP_1)
	v_dual_add_nc_u32 v34, 1, v32 :: v_dual_cndmask_b32 v33, v32, v33, s2
	v_fma_f32 v32, -v34, v32, v30
	s_delay_alu instid0(VALU_DEP_1) | instskip(NEXT) | instid1(VALU_DEP_1)
	v_cmp_lt_f32_e64 s2, 0, v32
	v_cndmask_b32_e64 v32, v33, v34, s2
	s_delay_alu instid0(VALU_DEP_1) | instskip(NEXT) | instid1(VALU_DEP_1)
	v_mul_f32_e32 v33, 0x37800000, v32
	v_cndmask_b32_e32 v32, v32, v33, vcc_lo
	v_cmp_class_f32_e64 vcc_lo, v30, 0x260
	s_delay_alu instid0(VALU_DEP_2) | instskip(SKIP_2) | instid1(VALU_DEP_1)
	v_cndmask_b32_e32 v32, v32, v30, vcc_lo
	v_cmp_gt_f32_e32 vcc_lo, 0xf800000, v31
	v_mul_f32_e32 v30, 0x4f800000, v31
	v_cndmask_b32_e32 v30, v31, v30, vcc_lo
	s_delay_alu instid0(VALU_DEP_1) | instskip(SKIP_1) | instid1(TRANS32_DEP_1)
	v_sqrt_f32_e32 v31, v30
	v_nop
	v_add_nc_u32_e32 v33, -1, v31
	s_delay_alu instid0(VALU_DEP_1) | instskip(NEXT) | instid1(VALU_DEP_1)
	v_fma_f32 v34, -v33, v31, v30
	v_cmp_ge_f32_e64 s2, 0, v34
	s_delay_alu instid0(VALU_DEP_1) | instskip(NEXT) | instid1(VALU_DEP_1)
	v_dual_add_nc_u32 v34, 1, v31 :: v_dual_cndmask_b32 v33, v31, v33, s2
	v_fma_f32 v31, -v34, v31, v30
	s_delay_alu instid0(VALU_DEP_1) | instskip(NEXT) | instid1(VALU_DEP_1)
	v_cmp_lt_f32_e64 s2, 0, v31
	v_cndmask_b32_e64 v31, v33, v34, s2
	s_delay_alu instid0(VALU_DEP_1) | instskip(NEXT) | instid1(VALU_DEP_1)
	v_mul_f32_e32 v33, 0x37800000, v31
	v_cndmask_b32_e32 v31, v31, v33, vcc_lo
	v_cmp_class_f32_e64 vcc_lo, v30, 0x260
	s_delay_alu instid0(VALU_DEP_2) | instskip(SKIP_1) | instid1(VALU_DEP_2)
	v_dual_cndmask_b32 v33, v31, v30 :: v_dual_mul_f32 v30, 0x4f800000, v28
	v_cmp_gt_f32_e32 vcc_lo, 0xf800000, v28
	v_cndmask_b32_e32 v28, v28, v30, vcc_lo
	s_delay_alu instid0(VALU_DEP_1) | instskip(SKIP_1) | instid1(TRANS32_DEP_1)
	v_sqrt_f32_e32 v30, v28
	v_nop
	v_add_nc_u32_e32 v31, -1, v30
	s_delay_alu instid0(VALU_DEP_1) | instskip(NEXT) | instid1(VALU_DEP_1)
	v_fma_f32 v34, -v31, v30, v28
	v_cmp_ge_f32_e64 s2, 0, v34
	s_delay_alu instid0(VALU_DEP_1) | instskip(NEXT) | instid1(VALU_DEP_1)
	v_dual_add_nc_u32 v34, 1, v30 :: v_dual_cndmask_b32 v31, v30, v31, s2
	v_fma_f32 v30, -v34, v30, v28
	s_delay_alu instid0(VALU_DEP_1) | instskip(NEXT) | instid1(VALU_DEP_1)
	v_cmp_lt_f32_e64 s2, 0, v30
	v_cndmask_b32_e64 v30, v31, v34, s2
	s_delay_alu instid0(VALU_DEP_1) | instskip(NEXT) | instid1(VALU_DEP_1)
	v_mul_f32_e32 v31, 0x37800000, v30
	v_cndmask_b32_e32 v30, v30, v31, vcc_lo
	v_cmp_class_f32_e64 vcc_lo, v28, 0x260
	s_delay_alu instid0(VALU_DEP_2) | instskip(SKIP_2) | instid1(VALU_DEP_1)
	v_cndmask_b32_e32 v34, v30, v28, vcc_lo
	v_cmp_gt_f32_e32 vcc_lo, 0xf800000, v29
	v_mul_f32_e32 v28, 0x4f800000, v29
	v_cndmask_b32_e32 v28, v29, v28, vcc_lo
	s_delay_alu instid0(VALU_DEP_1) | instskip(SKIP_1) | instid1(TRANS32_DEP_1)
	v_sqrt_f32_e32 v29, v28
	v_nop
	v_add_nc_u32_e32 v30, -1, v29
	s_delay_alu instid0(VALU_DEP_1) | instskip(NEXT) | instid1(VALU_DEP_1)
	v_fma_f32 v31, -v30, v29, v28
	v_cmp_ge_f32_e64 s2, 0, v31
	s_delay_alu instid0(VALU_DEP_1) | instskip(NEXT) | instid1(VALU_DEP_1)
	v_dual_add_nc_u32 v31, 1, v29 :: v_dual_cndmask_b32 v30, v29, v30, s2
	v_fma_f32 v29, -v31, v29, v28
	s_delay_alu instid0(VALU_DEP_1) | instskip(NEXT) | instid1(VALU_DEP_1)
	v_cmp_lt_f32_e64 s2, 0, v29
	v_cndmask_b32_e64 v29, v30, v31, s2
	s_add_co_i32 s2, s20, s12
	s_delay_alu instid0(VALU_DEP_1) | instskip(NEXT) | instid1(VALU_DEP_1)
	v_mul_f32_e32 v30, 0x37800000, v29
	v_cndmask_b32_e32 v29, v29, v30, vcc_lo
	v_cmp_class_f32_e64 vcc_lo, v28, 0x260
	s_delay_alu instid0(VALU_DEP_2)
	v_dual_cndmask_b32 v35, v29, v28 :: v_dual_mov_b32 v28, s2
	s_add_co_i32 s2, s20, s13
	s_add_co_i32 s20, s20, 4
	s_cmp_ge_i32 s15, s3
	ds_load_b32 v30, v28
	s_wait_dscnt 0x0
	v_div_scale_f32 v28, null, v35, v35, v30
	s_delay_alu instid0(VALU_DEP_1) | instskip(SKIP_1) | instid1(TRANS32_DEP_1)
	v_rcp_f32_e32 v29, v28
	v_nop
	v_fma_f32 v31, -v28, v29, 1.0
	s_delay_alu instid0(VALU_DEP_1) | instskip(SKIP_1) | instid1(VALU_DEP_1)
	v_fmac_f32_e32 v29, v31, v29
	v_div_scale_f32 v31, vcc_lo, v30, v35, v30
	v_mul_f32_e32 v36, v31, v29
	s_delay_alu instid0(VALU_DEP_1) | instskip(NEXT) | instid1(VALU_DEP_1)
	v_fma_f32 v37, -v28, v36, v31
	v_fmac_f32_e32 v36, v37, v29
	s_delay_alu instid0(VALU_DEP_1) | instskip(NEXT) | instid1(VALU_DEP_1)
	v_fma_f32 v28, -v28, v36, v31
	v_div_fmas_f32 v28, v28, v29, v36
	s_delay_alu instid0(VALU_DEP_1) | instskip(SKIP_1) | instid1(VALU_DEP_1)
	v_div_fixup_f32 v29, v28, v35, v30
	v_div_scale_f32 v28, null, v34, v34, v30
	v_rcp_f32_e32 v31, v28
	v_nop
	s_delay_alu instid0(TRANS32_DEP_1) | instskip(NEXT) | instid1(VALU_DEP_1)
	v_fma_f32 v36, -v28, v31, 1.0
	v_fmac_f32_e32 v31, v36, v31
	v_div_scale_f32 v36, vcc_lo, v30, v34, v30
	s_delay_alu instid0(VALU_DEP_1) | instskip(NEXT) | instid1(VALU_DEP_1)
	v_mul_f32_e32 v37, v36, v31
	v_fma_f32 v38, -v28, v37, v36
	s_delay_alu instid0(VALU_DEP_1) | instskip(NEXT) | instid1(VALU_DEP_1)
	v_fmac_f32_e32 v37, v38, v31
	v_fma_f32 v28, -v28, v37, v36
	s_delay_alu instid0(VALU_DEP_1) | instskip(SKIP_1) | instid1(VALU_DEP_2)
	v_div_fmas_f32 v28, v28, v31, v37
	v_div_scale_f32 v31, null, v33, v33, v30
	v_div_fixup_f32 v28, v28, v34, v30
	s_delay_alu instid0(VALU_DEP_2) | instskip(NEXT) | instid1(VALU_DEP_1)
	v_rcp_f32_e32 v36, v31
	v_pk_mul_f32 v[28:29], v[22:23], v[28:29]
	s_delay_alu instid0(TRANS32_DEP_1) | instskip(NEXT) | instid1(VALU_DEP_1)
	v_fma_f32 v37, -v31, v36, 1.0
	v_fmac_f32_e32 v36, v37, v36
	v_div_scale_f32 v37, vcc_lo, v30, v33, v30
	s_delay_alu instid0(VALU_DEP_1) | instskip(NEXT) | instid1(VALU_DEP_1)
	v_mul_f32_e32 v38, v37, v36
	v_fma_f32 v39, -v31, v38, v37
	s_delay_alu instid0(VALU_DEP_1) | instskip(NEXT) | instid1(VALU_DEP_1)
	v_fmac_f32_e32 v38, v39, v36
	v_fma_f32 v31, -v31, v38, v37
	s_delay_alu instid0(VALU_DEP_1) | instskip(SKIP_1) | instid1(VALU_DEP_2)
	v_div_fmas_f32 v31, v31, v36, v38
	v_div_scale_f32 v36, null, v32, v32, v30
	v_div_fixup_f32 v31, v31, v33, v30
	s_delay_alu instid0(VALU_DEP_2) | instskip(SKIP_1) | instid1(TRANS32_DEP_1)
	v_rcp_f32_e32 v37, v36
	v_nop
	v_fma_f32 v38, -v36, v37, 1.0
	s_delay_alu instid0(VALU_DEP_1) | instskip(SKIP_1) | instid1(VALU_DEP_1)
	v_fmac_f32_e32 v37, v38, v37
	v_div_scale_f32 v38, vcc_lo, v30, v32, v30
	v_mul_f32_e32 v39, v38, v37
	s_delay_alu instid0(VALU_DEP_1) | instskip(NEXT) | instid1(VALU_DEP_1)
	v_fma_f32 v40, -v36, v39, v38
	v_fmac_f32_e32 v39, v40, v37
	s_delay_alu instid0(VALU_DEP_1) | instskip(NEXT) | instid1(VALU_DEP_1)
	v_fma_f32 v36, -v36, v39, v38
	v_div_fmas_f32 v36, v36, v37, v39
	s_delay_alu instid0(VALU_DEP_1) | instskip(SKIP_1) | instid1(VALU_DEP_2)
	v_div_fixup_f32 v30, v36, v32, v30
	v_mov_b32_e32 v36, s2
	v_pk_mul_f32 v[30:31], v[20:21], v[30:31]
	ds_load_b32 v36, v36
	s_wait_dscnt 0x0
	v_dual_sub_f32 v33, v33, v36 :: v_dual_sub_f32 v32, v32, v36
	v_sub_f32_e32 v35, v35, v36
	s_delay_alu instid0(VALU_DEP_2) | instskip(NEXT) | instid1(VALU_DEP_1)
	v_pk_mul_f32 v[32:33], v[26:27], v[32:33]
	v_mul_f32_e32 v37, 0x3fb8aa3b, v32
	v_cmp_ngt_f32_e32 vcc_lo, 0xc2ce8ed0, v32
	s_delay_alu instid0(VALU_DEP_2) | instskip(SKIP_2) | instid1(VALU_DEP_2)
	v_fma_f32 v38, 0x3fb8aa3b, v32, -v37
	v_rndne_f32_e32 v39, v37
	v_sub_f32_e32 v34, v34, v36
	v_dual_fmac_f32 v38, 0x32a5705f, v32 :: v_dual_sub_f32 v37, v37, v39
	s_delay_alu instid0(VALU_DEP_2) | instskip(NEXT) | instid1(VALU_DEP_2)
	v_pk_mul_f32 v[34:35], v[24:25], v[34:35]
	v_add_f32_e32 v37, v37, v38
	v_cvt_i32_f32_e32 v38, v39
	s_delay_alu instid0(VALU_DEP_2) | instskip(SKIP_1) | instid1(TRANS32_DEP_1)
	v_exp_f32_e32 v37, v37
	v_nop
	v_ldexp_f32 v37, v37, v38
	s_delay_alu instid0(VALU_DEP_1) | instskip(SKIP_1) | instid1(VALU_DEP_2)
	v_cndmask_b32_e32 v37, 0, v37, vcc_lo
	v_cmp_nlt_f32_e32 vcc_lo, 0x42b17218, v32
	v_cndmask_b32_e32 v32, 0x7f800000, v37, vcc_lo
	v_mul_f32_e32 v37, 0x3fb8aa3b, v33
	v_cmp_ngt_f32_e32 vcc_lo, 0xc2ce8ed0, v33
	s_delay_alu instid0(VALU_DEP_2) | instskip(SKIP_1) | instid1(VALU_DEP_1)
	v_fma_f32 v38, 0x3fb8aa3b, v33, -v37
	v_rndne_f32_e32 v39, v37
	v_dual_fmac_f32 v38, 0x32a5705f, v33 :: v_dual_sub_f32 v37, v37, v39
	s_delay_alu instid0(VALU_DEP_1) | instskip(SKIP_1) | instid1(VALU_DEP_2)
	v_add_f32_e32 v37, v37, v38
	v_cvt_i32_f32_e32 v38, v39
	v_exp_f32_e32 v37, v37
	v_nop
	s_delay_alu instid0(TRANS32_DEP_1) | instskip(NEXT) | instid1(VALU_DEP_1)
	v_ldexp_f32 v37, v37, v38
	v_cndmask_b32_e32 v37, 0, v37, vcc_lo
	v_cmp_nlt_f32_e32 vcc_lo, 0x42b17218, v33
	s_delay_alu instid0(VALU_DEP_2) | instskip(SKIP_2) | instid1(VALU_DEP_3)
	v_cndmask_b32_e32 v33, 0x7f800000, v37, vcc_lo
	v_mul_f32_e32 v37, 0x3fb8aa3b, v34
	v_cmp_ngt_f32_e32 vcc_lo, 0xc2ce8ed0, v34
	v_pk_mul_f32 v[30:31], v[30:31], v[32:33]
	s_delay_alu instid0(VALU_DEP_3) | instskip(SKIP_2) | instid1(VALU_DEP_2)
	v_fma_f32 v38, 0x3fb8aa3b, v34, -v37
	v_rndne_f32_e32 v39, v37
	v_fma_f32 v32, s21, v36, 1.0
	v_dual_fmac_f32 v38, 0x32a5705f, v34 :: v_dual_sub_f32 v37, v37, v39
	s_delay_alu instid0(VALU_DEP_2) | instskip(NEXT) | instid1(VALU_DEP_2)
	v_div_scale_f32 v33, null, v32, v32, v31
	v_add_f32_e32 v37, v37, v38
	v_cvt_i32_f32_e32 v38, v39
	s_delay_alu instid0(VALU_DEP_2) | instskip(SKIP_1) | instid1(TRANS32_DEP_1)
	v_exp_f32_e32 v37, v37
	v_nop
	v_ldexp_f32 v37, v37, v38
	s_delay_alu instid0(VALU_DEP_1) | instskip(SKIP_1) | instid1(VALU_DEP_2)
	v_cndmask_b32_e32 v37, 0, v37, vcc_lo
	v_cmp_nlt_f32_e32 vcc_lo, 0x42b17218, v34
	v_cndmask_b32_e32 v34, 0x7f800000, v37, vcc_lo
	v_mul_f32_e32 v37, 0x3fb8aa3b, v35
	v_cmp_ngt_f32_e32 vcc_lo, 0xc2ce8ed0, v35
	s_delay_alu instid0(VALU_DEP_2) | instskip(SKIP_1) | instid1(VALU_DEP_2)
	v_fma_f32 v38, 0x3fb8aa3b, v35, -v37
	v_rndne_f32_e32 v39, v37
	v_fmac_f32_e32 v38, 0x32a5705f, v35
	s_delay_alu instid0(VALU_DEP_2) | instskip(NEXT) | instid1(VALU_DEP_1)
	v_sub_f32_e32 v37, v37, v39
	v_add_f32_e32 v37, v37, v38
	v_cvt_i32_f32_e32 v38, v39
	s_delay_alu instid0(VALU_DEP_2) | instskip(SKIP_1) | instid1(TRANS32_DEP_1)
	v_exp_f32_e32 v37, v37
	v_nop
	v_ldexp_f32 v37, v37, v38
	s_delay_alu instid0(VALU_DEP_1) | instskip(SKIP_1) | instid1(VALU_DEP_2)
	v_cndmask_b32_e32 v37, 0, v37, vcc_lo
	v_cmp_nlt_f32_e32 vcc_lo, 0x42b17218, v35
	v_cndmask_b32_e32 v35, 0x7f800000, v37, vcc_lo
	s_delay_alu instid0(VALU_DEP_1) | instskip(SKIP_2) | instid1(TRANS32_DEP_1)
	v_pk_mul_f32 v[28:29], v[28:29], v[34:35]
	v_rcp_f32_e32 v34, v33
	v_nop
	v_fma_f32 v35, -v33, v34, 1.0
	s_delay_alu instid0(VALU_DEP_1) | instskip(SKIP_1) | instid1(VALU_DEP_1)
	v_fmac_f32_e32 v34, v35, v34
	v_div_scale_f32 v35, vcc_lo, v31, v32, v31
	v_mul_f32_e32 v36, v35, v34
	s_delay_alu instid0(VALU_DEP_1) | instskip(NEXT) | instid1(VALU_DEP_1)
	v_fma_f32 v37, -v33, v36, v35
	v_fmac_f32_e32 v36, v37, v34
	s_delay_alu instid0(VALU_DEP_1) | instskip(NEXT) | instid1(VALU_DEP_1)
	v_fma_f32 v33, -v33, v36, v35
	v_div_fmas_f32 v33, v33, v34, v36
	s_delay_alu instid0(VALU_DEP_1) | instskip(SKIP_1) | instid1(VALU_DEP_1)
	v_div_fixup_f32 v31, v33, v32, v31
	v_div_scale_f32 v33, null, v32, v32, v30
	v_rcp_f32_e32 v34, v33
	v_nop
	s_delay_alu instid0(TRANS32_DEP_1) | instskip(NEXT) | instid1(VALU_DEP_1)
	v_fma_f32 v35, -v33, v34, 1.0
	v_fmac_f32_e32 v34, v35, v34
	v_div_scale_f32 v35, vcc_lo, v30, v32, v30
	s_delay_alu instid0(VALU_DEP_1) | instskip(NEXT) | instid1(VALU_DEP_1)
	v_mul_f32_e32 v36, v35, v34
	v_fma_f32 v37, -v33, v36, v35
	s_delay_alu instid0(VALU_DEP_1) | instskip(NEXT) | instid1(VALU_DEP_1)
	v_fmac_f32_e32 v36, v37, v34
	v_fma_f32 v33, -v33, v36, v35
	s_delay_alu instid0(VALU_DEP_1) | instskip(NEXT) | instid1(VALU_DEP_1)
	v_div_fmas_f32 v33, v33, v34, v36
	v_div_fixup_f32 v30, v33, v32, v30
	v_div_scale_f32 v33, null, v32, v32, v29
	s_delay_alu instid0(VALU_DEP_2) | instskip(NEXT) | instid1(VALU_DEP_2)
	v_pk_add_f32 v[10:11], v[10:11], v[30:31]
	v_rcp_f32_e32 v34, v33
	v_nop
	s_delay_alu instid0(TRANS32_DEP_1) | instskip(NEXT) | instid1(VALU_DEP_1)
	v_fma_f32 v35, -v33, v34, 1.0
	v_fmac_f32_e32 v34, v35, v34
	v_div_scale_f32 v35, vcc_lo, v29, v32, v29
	s_delay_alu instid0(VALU_DEP_1) | instskip(NEXT) | instid1(VALU_DEP_1)
	v_mul_f32_e32 v36, v35, v34
	v_fma_f32 v37, -v33, v36, v35
	s_delay_alu instid0(VALU_DEP_1) | instskip(NEXT) | instid1(VALU_DEP_1)
	v_fmac_f32_e32 v36, v37, v34
	v_fma_f32 v33, -v33, v36, v35
	s_delay_alu instid0(VALU_DEP_1) | instskip(NEXT) | instid1(VALU_DEP_1)
	v_div_fmas_f32 v33, v33, v34, v36
	v_div_fixup_f32 v29, v33, v32, v29
	v_div_scale_f32 v33, null, v32, v32, v28
	s_delay_alu instid0(VALU_DEP_1) | instskip(SKIP_1) | instid1(TRANS32_DEP_1)
	v_rcp_f32_e32 v34, v33
	v_nop
	v_fma_f32 v35, -v33, v34, 1.0
	s_delay_alu instid0(VALU_DEP_1) | instskip(SKIP_1) | instid1(VALU_DEP_1)
	v_fmac_f32_e32 v34, v35, v34
	v_div_scale_f32 v35, vcc_lo, v28, v32, v28
	v_mul_f32_e32 v36, v35, v34
	s_delay_alu instid0(VALU_DEP_1) | instskip(NEXT) | instid1(VALU_DEP_1)
	v_fma_f32 v37, -v33, v36, v35
	v_fmac_f32_e32 v36, v37, v34
	s_delay_alu instid0(VALU_DEP_1) | instskip(NEXT) | instid1(VALU_DEP_1)
	v_fma_f32 v33, -v33, v36, v35
	v_div_fmas_f32 v33, v33, v34, v36
	s_delay_alu instid0(VALU_DEP_1) | instskip(NEXT) | instid1(VALU_DEP_1)
	v_div_fixup_f32 v28, v33, v32, v28
	v_pk_add_f32 v[12:13], v[12:13], v[28:29]
	s_cbranch_scc0 .LBB1_7
	s_branch .LBB1_2
.LBB1_8:
	v_mov_b32_e32 v10, 0
	s_delay_alu instid0(VALU_DEP_1)
	v_dual_mov_b32 v11, v10 :: v_dual_mov_b32 v12, v10
	v_mov_b32_e32 v13, v10
.LBB1_9:
	s_load_b64 s[0:1], s[0:1], 0x40
	s_wait_kmcnt 0x0
	v_lshl_add_u64 v[0:1], v[18:19], 4, s[0:1]
	global_store_b128 v[0:1], v[10:13], off
	s_endpgm
	.section	.rodata,"a",@progbits
	.p2align	6, 0x0
	.amdhsa_kernel _Z4mdh2PKfS0_S0_S0_S0_S0_S0_S0_Pfffi
		.amdhsa_group_segment_fixed_size 0
		.amdhsa_private_segment_fixed_size 0
		.amdhsa_kernarg_size 344
		.amdhsa_user_sgpr_count 2
		.amdhsa_user_sgpr_dispatch_ptr 0
		.amdhsa_user_sgpr_queue_ptr 0
		.amdhsa_user_sgpr_kernarg_segment_ptr 1
		.amdhsa_user_sgpr_dispatch_id 0
		.amdhsa_user_sgpr_kernarg_preload_length 0
		.amdhsa_user_sgpr_kernarg_preload_offset 0
		.amdhsa_user_sgpr_private_segment_size 0
		.amdhsa_wavefront_size32 1
		.amdhsa_uses_dynamic_stack 0
		.amdhsa_enable_private_segment 0
		.amdhsa_system_sgpr_workgroup_id_x 1
		.amdhsa_system_sgpr_workgroup_id_y 0
		.amdhsa_system_sgpr_workgroup_id_z 0
		.amdhsa_system_sgpr_workgroup_info 0
		.amdhsa_system_vgpr_workitem_id 0
		.amdhsa_next_free_vgpr 41
		.amdhsa_next_free_sgpr 23
		.amdhsa_named_barrier_count 0
		.amdhsa_reserve_vcc 1
		.amdhsa_float_round_mode_32 0
		.amdhsa_float_round_mode_16_64 0
		.amdhsa_float_denorm_mode_32 3
		.amdhsa_float_denorm_mode_16_64 3
		.amdhsa_fp16_overflow 0
		.amdhsa_memory_ordered 1
		.amdhsa_forward_progress 1
		.amdhsa_inst_pref_size 21
		.amdhsa_round_robin_scheduling 0
		.amdhsa_exception_fp_ieee_invalid_op 0
		.amdhsa_exception_fp_denorm_src 0
		.amdhsa_exception_fp_ieee_div_zero 0
		.amdhsa_exception_fp_ieee_overflow 0
		.amdhsa_exception_fp_ieee_underflow 0
		.amdhsa_exception_fp_ieee_inexact 0
		.amdhsa_exception_int_div_zero 0
	.end_amdhsa_kernel
	.text
.Lfunc_end1:
	.size	_Z4mdh2PKfS0_S0_S0_S0_S0_S0_S0_Pfffi, .Lfunc_end1-_Z4mdh2PKfS0_S0_S0_S0_S0_S0_S0_Pfffi
                                        ; -- End function
	.set _Z4mdh2PKfS0_S0_S0_S0_S0_S0_S0_Pfffi.num_vgpr, 41
	.set _Z4mdh2PKfS0_S0_S0_S0_S0_S0_S0_Pfffi.num_agpr, 0
	.set _Z4mdh2PKfS0_S0_S0_S0_S0_S0_S0_Pfffi.numbered_sgpr, 23
	.set _Z4mdh2PKfS0_S0_S0_S0_S0_S0_S0_Pfffi.num_named_barrier, 0
	.set _Z4mdh2PKfS0_S0_S0_S0_S0_S0_S0_Pfffi.private_seg_size, 0
	.set _Z4mdh2PKfS0_S0_S0_S0_S0_S0_S0_Pfffi.uses_vcc, 1
	.set _Z4mdh2PKfS0_S0_S0_S0_S0_S0_S0_Pfffi.uses_flat_scratch, 0
	.set _Z4mdh2PKfS0_S0_S0_S0_S0_S0_S0_Pfffi.has_dyn_sized_stack, 0
	.set _Z4mdh2PKfS0_S0_S0_S0_S0_S0_S0_Pfffi.has_recursion, 0
	.set _Z4mdh2PKfS0_S0_S0_S0_S0_S0_S0_Pfffi.has_indirect_call, 0
	.section	.AMDGPU.csdata,"",@progbits
; Kernel info:
; codeLenInByte = 2640
; TotalNumSgprs: 25
; NumVgprs: 41
; ScratchSize: 0
; MemoryBound: 0
; FloatMode: 240
; IeeeMode: 1
; LDSByteSize: 0 bytes/workgroup (compile time only)
; SGPRBlocks: 0
; VGPRBlocks: 2
; NumSGPRsForWavesPerEU: 25
; NumVGPRsForWavesPerEU: 41
; NamedBarCnt: 0
; Occupancy: 16
; WaveLimiterHint : 0
; COMPUTE_PGM_RSRC2:SCRATCH_EN: 0
; COMPUTE_PGM_RSRC2:USER_SGPR: 2
; COMPUTE_PGM_RSRC2:TRAP_HANDLER: 0
; COMPUTE_PGM_RSRC2:TGID_X_EN: 1
; COMPUTE_PGM_RSRC2:TGID_Y_EN: 0
; COMPUTE_PGM_RSRC2:TGID_Z_EN: 0
; COMPUTE_PGM_RSRC2:TIDIG_COMP_CNT: 0
	.text
	.protected	_Z4mdh3PKfS0_S0_S0_S0_S0_S0_S0_Pfffi ; -- Begin function _Z4mdh3PKfS0_S0_S0_S0_S0_S0_S0_Pfffi
	.globl	_Z4mdh3PKfS0_S0_S0_S0_S0_S0_S0_Pfffi
	.p2align	8
	.type	_Z4mdh3PKfS0_S0_S0_S0_S0_S0_S0_Pfffi,@function
_Z4mdh3PKfS0_S0_S0_S0_S0_S0_S0_Pfffi:   ; @_Z4mdh3PKfS0_S0_S0_S0_S0_S0_S0_Pfffi
; %bb.0:
	s_clause 0x1
	s_load_b32 s2, s[0:1], 0x64
	s_load_b96 s[4:6], s[0:1], 0x48
	s_bfe_u32 s3, ttmp6, 0x4000c
	s_and_b32 s8, ttmp6, 15
	s_add_co_i32 s3, s3, 1
	s_getreg_b32 s9, hwreg(HW_REG_IB_STS2, 6, 4)
	s_mul_i32 s3, ttmp9, s3
	s_delay_alu instid0(SALU_CYCLE_1)
	s_add_co_i32 s8, s8, s3
	s_wait_kmcnt 0x0
	s_and_b32 s7, s2, 0xffff
	s_cmp_eq_u32 s9, 0
	s_cselect_b32 s2, ttmp9, s8
	s_cmp_lt_i32 s6, 1
	v_mad_u32 v18, s2, s7, v0
	s_delay_alu instid0(VALU_DEP_1)
	v_ashrrev_i32_e32 v19, 31, v18
	s_cbranch_scc1 .LBB2_8
; %bb.1:
	s_clause 0x1
	s_load_b256 s[8:15], s[0:1], 0x0
	s_load_b256 s[16:23], s[0:1], 0x20
	v_lshlrev_b64_e32 v[2:3], 4, v[18:19]
	s_mov_b32 s2, s4
	s_mov_b32 s3, s4
	v_lshl_add_u32 v1, v0, 2, 0
	v_dual_mov_b32 v22, s4 :: v_dual_mov_b32 v23, s4
	s_wait_kmcnt 0x0
	s_delay_alu instid0(VALU_DEP_3)
	v_add_nc_u64_e32 v[10:11], s[14:15], v[2:3]
	v_add_nc_u64_e32 v[12:13], s[16:17], v[2:3]
	;; [unrolled: 1-line block ×3, first 2 shown]
	global_load_b128 v[2:5], v[10:11], off
	global_load_b128 v[6:9], v[12:13], off
	;; [unrolled: 1-line block ×3, first 2 shown]
	s_xor_b32 s14, s5, 0x80000000
	s_wait_xcnt 0x2
	v_mov_b32_e32 v10, 0
	s_mov_b32 s15, s14
	s_wait_xcnt 0x0
	v_mov_b64_e32 v[20:21], s[2:3]
	v_mov_b64_e32 v[26:27], s[14:15]
	v_dual_mov_b32 v24, s14 :: v_dual_mov_b32 v25, s14
	v_dual_mov_b32 v11, v10 :: v_dual_mov_b32 v12, v10
	v_mov_b32_e32 v13, v10
	s_mov_b32 s14, 0
	s_branch .LBB2_3
.LBB2_2:                                ;   in Loop: Header=BB2_3 Depth=1
	s_add_co_i32 s14, s7, s14
	s_delay_alu instid0(SALU_CYCLE_1)
	s_cmp_ge_i32 s14, s6
	s_barrier_signal -1
	s_barrier_wait -1
	s_cbranch_scc1 .LBB2_9
.LBB2_3:                                ; =>This Loop Header: Depth=1
                                        ;     Child Loop BB2_7 Depth 2
	s_add_co_i32 s2, s7, s14
	v_add_nc_u32_e32 v28, s14, v0
	s_sub_co_i32 s3, s6, s14
	s_cmp_gt_i32 s2, s6
	s_cselect_b32 s7, s3, s7
	s_mov_b32 s3, exec_lo
	v_cmpx_gt_i32_e64 s6, v28
	s_cbranch_execz .LBB2_5
; %bb.4:                                ;   in Loop: Header=BB2_3 Depth=1
	s_clause 0x4
	global_load_b32 v29, v28, s[8:9] scale_offset
	global_load_b32 v30, v28, s[10:11] scale_offset
	;; [unrolled: 1-line block ×5, first 2 shown]
	s_wait_xcnt 0x0
	v_mad_u32 v28, s7, 12, v1
	v_lshl_add_u32 v34, s7, 2, v1
	v_lshl_add_u32 v35, s7, 3, v1
	;; [unrolled: 1-line block ×3, first 2 shown]
	s_wait_loadcnt 0x4
	ds_store_b32 v1, v29
	s_wait_loadcnt 0x3
	ds_store_b32 v34, v30
	;; [unrolled: 2-line block ×5, first 2 shown]
.LBB2_5:                                ;   in Loop: Header=BB2_3 Depth=1
	s_or_b32 exec_lo, exec_lo, s3
	s_cmp_lt_i32 s7, 1
	s_wait_loadcnt_dscnt 0x0
	s_barrier_signal -1
	s_barrier_wait -1
	s_cbranch_scc1 .LBB2_2
; %bb.6:                                ;   in Loop: Header=BB2_3 Depth=1
	s_min_i32 s2, s6, s2
	s_lshl_b32 s3, s14, 2
	s_lshl_b32 s2, s2, 2
	s_lshl_b32 s15, s7, 3
	s_mul_i32 s16, s7, 12
	s_lshl_b32 s17, s7, 4
	s_sub_co_i32 s18, s2, s3
	s_mov_b32 s19, 0
	s_mov_b32 s24, 0
.LBB2_7:                                ;   Parent Loop BB2_3 Depth=1
                                        ; =>  This Inner Loop Header: Depth=2
	s_delay_alu instid0(SALU_CYCLE_1) | instskip(NEXT) | instid1(SALU_CYCLE_1)
	s_add_co_i32 s2, s24, s18
	v_dual_mov_b32 v28, s24 :: v_dual_mov_b32 v29, s2
	s_add_co_i32 s3, s24, s15
	s_add_co_i32 s25, s24, s17
	;; [unrolled: 1-line block ×3, first 2 shown]
	s_delay_alu instid0(SALU_CYCLE_1)
	v_dual_mov_b32 v30, s3 :: v_dual_mov_b32 v31, s4
	v_mov_b32_e32 v32, s25
	ds_load_b32 v33, v28
	ds_load_b32 v34, v29
	;; [unrolled: 1-line block ×5, first 2 shown]
	s_add_co_i32 s19, s19, 1
	s_add_co_i32 s24, s24, 4
	s_cmp_ge_i32 s19, s7
	s_wait_dscnt 0x4
	v_dual_sub_f32 v29, v5, v33 :: v_dual_sub_f32 v28, v4, v33
	v_dual_sub_f32 v31, v3, v33 :: v_dual_sub_f32 v30, v2, v33
	s_wait_dscnt 0x3
	v_dual_sub_f32 v33, v7, v34 :: v_dual_sub_f32 v32, v6, v34
	v_sub_f32_e32 v35, v9, v34
	s_wait_dscnt 0x2
	v_dual_sub_f32 v37, v15, v38 :: v_dual_sub_f32 v36, v14, v38
	v_dual_sub_f32 v39, v17, v38 :: v_dual_sub_f32 v38, v16, v38
	v_pk_mul_f32 v[32:33], v[32:33], v[32:33]
	s_wait_dscnt 0x1
	v_fma_f32 v42, s5, v40, 1.0
	s_delay_alu instid0(VALU_DEP_2) | instskip(NEXT) | instid1(VALU_DEP_1)
	v_pk_fma_f32 v[30:31], v[30:31], v[30:31], v[32:33]
	v_pk_fma_f32 v[30:31], v[36:37], v[36:37], v[30:31]
	s_delay_alu instid0(VALU_DEP_1) | instskip(NEXT) | instid1(VALU_DEP_2)
	v_cmp_gt_f32_e64 s2, 0x800000, v31
	v_cmp_gt_f32_e32 vcc_lo, 0x800000, v30
	s_delay_alu instid0(VALU_DEP_2) | instskip(SKIP_1) | instid1(VALU_DEP_2)
	v_cndmask_b32_e64 v33, 0, 32, s2
	v_cndmask_b32_e64 v32, 0, 32, vcc_lo
	v_ldexp_f32 v31, v31, v33
	v_cndmask_b32_e64 v33, 0, -16, s2
	s_delay_alu instid0(VALU_DEP_3) | instskip(SKIP_1) | instid1(VALU_DEP_4)
	v_ldexp_f32 v30, v30, v32
	v_cndmask_b32_e64 v32, 0, -16, vcc_lo
	v_sqrt_f32_e32 v31, v31
	s_delay_alu instid0(VALU_DEP_2) | instskip(NEXT) | instid1(TRANS32_DEP_2)
	v_sqrt_f32_e32 v30, v30
	v_ldexp_f32 v37, v31, v33
	v_sub_f32_e32 v34, v8, v34
	s_delay_alu instid0(TRANS32_DEP_1) | instskip(SKIP_1) | instid1(VALU_DEP_3)
	v_ldexp_f32 v36, v30, v32
	s_wait_dscnt 0x0
	v_div_scale_f32 v43, null, v37, v37, v41
	s_delay_alu instid0(VALU_DEP_3) | instskip(NEXT) | instid1(VALU_DEP_3)
	v_pk_mul_f32 v[34:35], v[34:35], v[34:35]
	v_div_scale_f32 v45, null, v36, v36, v41
	s_delay_alu instid0(VALU_DEP_3) | instskip(NEXT) | instid1(VALU_DEP_2)
	v_rcp_f32_e32 v48, v43
	v_pk_fma_f32 v[28:29], v[28:29], v[28:29], v[34:35]
	s_delay_alu instid0(VALU_DEP_2) | instskip(NEXT) | instid1(VALU_DEP_1)
	v_rcp_f32_e32 v49, v45
	v_pk_fma_f32 v[28:29], v[38:39], v[38:39], v[28:29]
	s_delay_alu instid0(TRANS32_DEP_2) | instskip(NEXT) | instid1(TRANS32_DEP_1)
	v_fma_f32 v52, -v43, v48, 1.0
	v_fma_f32 v53, -v45, v49, 1.0
	s_delay_alu instid0(VALU_DEP_3) | instskip(NEXT) | instid1(VALU_DEP_4)
	v_cmp_gt_f32_e64 s3, 0x800000, v29
	v_cmp_gt_f32_e64 s4, 0x800000, v28
	s_delay_alu instid0(VALU_DEP_4) | instskip(NEXT) | instid1(VALU_DEP_3)
	v_fmac_f32_e32 v48, v52, v48
	v_cndmask_b32_e64 v34, 0, 32, s3
	s_delay_alu instid0(VALU_DEP_3) | instskip(NEXT) | instid1(VALU_DEP_2)
	v_cndmask_b32_e64 v35, 0, 32, s4
	v_ldexp_f32 v29, v29, v34
	s_delay_alu instid0(VALU_DEP_2)
	v_ldexp_f32 v28, v28, v35
	v_cndmask_b32_e64 v35, 0, -16, s3
	v_cndmask_b32_e64 v34, 0, -16, s4
	v_div_scale_f32 v44, s3, v41, v37, v41
	v_sqrt_f32_e32 v29, v29
	v_sqrt_f32_e32 v28, v28
	s_delay_alu instid0(VALU_DEP_1) | instskip(NEXT) | instid1(TRANS32_DEP_2)
	v_mul_f32_e32 v52, v44, v48
	v_ldexp_f32 v35, v29, v35
	s_delay_alu instid0(TRANS32_DEP_1) | instskip(SKIP_1) | instid1(VALU_DEP_4)
	v_ldexp_f32 v32, v28, v34
	v_dual_sub_f32 v29, v37, v40 :: v_dual_sub_f32 v28, v36, v40
	v_fma_f32 v56, -v43, v52, v44
	s_delay_alu instid0(VALU_DEP_4) | instskip(NEXT) | instid1(VALU_DEP_4)
	v_div_scale_f32 v33, null, v35, v35, v41
	v_div_scale_f32 v38, null, v32, v32, v41
	v_sub_f32_e32 v31, v35, v40
	s_delay_alu instid0(VALU_DEP_3) | instskip(SKIP_1) | instid1(VALU_DEP_3)
	v_rcp_f32_e32 v46, v33
	v_pk_mul_f32 v[28:29], v[26:27], v[28:29]
	v_rcp_f32_e32 v47, v38
	v_sub_f32_e32 v30, v32, v40
	v_div_scale_f32 v34, vcc_lo, v41, v35, v41
	s_delay_alu instid0(VALU_DEP_3) | instskip(NEXT) | instid1(TRANS32_DEP_2)
	v_mul_f32_e32 v29, 0x3fb8aa3b, v29
	v_fma_f32 v50, -v33, v46, 1.0
	s_delay_alu instid0(VALU_DEP_4) | instskip(NEXT) | instid1(TRANS32_DEP_1)
	v_pk_mul_f32 v[30:31], v[24:25], v[30:31]
	v_fma_f32 v51, -v38, v47, 1.0
	v_div_scale_f32 v39, s2, v41, v32, v41
	s_delay_alu instid0(VALU_DEP_4) | instskip(NEXT) | instid1(VALU_DEP_3)
	v_fmac_f32_e32 v46, v50, v46
	v_dual_mul_f32 v30, 0x3fb8aa3b, v30 :: v_dual_fmac_f32 v47, v51, v47
	v_div_scale_f32 v40, s4, v41, v36, v41
	s_delay_alu instid0(VALU_DEP_3) | instskip(NEXT) | instid1(VALU_DEP_3)
	v_dual_fmac_f32 v49, v53, v49 :: v_dual_mul_f32 v50, v34, v46
	v_dual_mul_f32 v51, v39, v47 :: v_dual_fmac_f32 v52, v56, v48
	v_dual_mul_f32 v28, 0x3fb8aa3b, v28 :: v_dual_mul_f32 v31, 0x3fb8aa3b, v31
	s_delay_alu instid0(VALU_DEP_3) | instskip(NEXT) | instid1(VALU_DEP_3)
	v_dual_mul_f32 v53, v40, v49 :: v_dual_fma_f32 v54, -v33, v50, v34
	v_fma_f32 v55, -v38, v51, v39
	v_exp_f32_e32 v30, v30
	s_delay_alu instid0(VALU_DEP_3) | instskip(NEXT) | instid1(VALU_DEP_2)
	v_exp_f32_e32 v31, v31
	v_dual_fma_f32 v57, -v45, v53, v40 :: v_dual_fmac_f32 v50, v54, v46
	s_delay_alu instid0(VALU_DEP_2) | instskip(SKIP_2) | instid1(VALU_DEP_2)
	v_fmac_f32_e32 v51, v55, v47
	v_exp_f32_e32 v28, v28
	v_exp_f32_e32 v29, v29
	v_fmac_f32_e32 v53, v57, v49
	s_delay_alu instid0(VALU_DEP_2) | instskip(SKIP_1) | instid1(VALU_DEP_3)
	v_dual_fma_f32 v33, -v33, v50, v34 :: v_dual_fma_f32 v34, -v38, v51, v39
	v_fma_f32 v38, -v43, v52, v44
	v_fma_f32 v39, -v45, v53, v40
	s_delay_alu instid0(VALU_DEP_3) | instskip(SKIP_3) | instid1(VALU_DEP_2)
	v_div_fmas_f32 v33, v33, v46, v50
	s_mov_b32 vcc_lo, s2
	v_div_fmas_f32 v34, v34, v47, v51
	s_mov_b32 vcc_lo, s3
	v_div_fixup_f32 v33, v33, v35, v41
	v_div_fmas_f32 v38, v38, v48, v52
	s_mov_b32 vcc_lo, s4
	v_div_fixup_f32 v32, v34, v32, v41
	s_delay_alu instid0(VALU_DEP_2) | instskip(NEXT) | instid1(VALU_DEP_2)
	v_div_fixup_f32 v35, v38, v37, v41
	v_pk_mul_f32 v[32:33], v[22:23], v[32:33]
	s_delay_alu instid0(VALU_DEP_1) | instskip(NEXT) | instid1(VALU_DEP_1)
	v_pk_mul_f32 v[30:31], v[32:33], v[30:31]
	v_div_scale_f32 v32, null, v42, v42, v31
	v_div_scale_f32 v33, s2, v31, v42, v31
	s_delay_alu instid0(VALU_DEP_2) | instskip(SKIP_1) | instid1(TRANS32_DEP_1)
	v_rcp_f32_e32 v40, v32
	v_nop
	v_fma_f32 v45, -v32, v40, 1.0
	s_delay_alu instid0(VALU_DEP_1) | instskip(SKIP_1) | instid1(VALU_DEP_1)
	v_fmac_f32_e32 v40, v45, v40
	v_div_fmas_f32 v39, v39, v49, v53
	v_div_fixup_f32 v34, v39, v36, v41
	s_delay_alu instid0(VALU_DEP_1) | instskip(NEXT) | instid1(VALU_DEP_1)
	v_pk_mul_f32 v[34:35], v[20:21], v[34:35]
	v_pk_mul_f32 v[28:29], v[34:35], v[28:29]
	v_div_scale_f32 v34, null, v42, v42, v30
	v_div_scale_f32 v35, s3, v30, v42, v30
	s_delay_alu instid0(VALU_DEP_3) | instskip(NEXT) | instid1(VALU_DEP_4)
	v_div_scale_f32 v36, null, v42, v42, v29
	v_div_scale_f32 v38, null, v42, v42, v28
	s_delay_alu instid0(VALU_DEP_4) | instskip(NEXT) | instid1(VALU_DEP_2)
	v_rcp_f32_e32 v41, v34
	v_rcp_f32_e32 v43, v36
	v_div_scale_f32 v37, vcc_lo, v29, v42, v29
	s_delay_alu instid0(VALU_DEP_2) | instskip(SKIP_1) | instid1(TRANS32_DEP_3)
	v_rcp_f32_e32 v44, v38
	v_div_scale_f32 v39, s4, v28, v42, v28
	v_fma_f32 v46, -v34, v41, 1.0
	s_delay_alu instid0(TRANS32_DEP_2) | instskip(NEXT) | instid1(TRANS32_DEP_1)
	v_fma_f32 v47, -v36, v43, 1.0
	v_fma_f32 v48, -v38, v44, 1.0
	s_delay_alu instid0(VALU_DEP_2) | instskip(NEXT) | instid1(VALU_DEP_1)
	v_dual_fmac_f32 v41, v46, v41 :: v_dual_fmac_f32 v43, v47, v43
	v_dual_fmac_f32 v44, v48, v44 :: v_dual_mul_f32 v46, v35, v41
	v_mul_f32_e32 v45, v33, v40
	s_delay_alu instid0(VALU_DEP_2) | instskip(NEXT) | instid1(VALU_DEP_2)
	v_dual_mul_f32 v47, v37, v43 :: v_dual_mul_f32 v48, v39, v44
	v_dual_fma_f32 v50, -v34, v46, v35 :: v_dual_fma_f32 v49, -v32, v45, v33
	s_delay_alu instid0(VALU_DEP_2) | instskip(NEXT) | instid1(VALU_DEP_2)
	v_dual_fma_f32 v51, -v36, v47, v37 :: v_dual_fma_f32 v52, -v38, v48, v39
	v_dual_fmac_f32 v46, v50, v41 :: v_dual_fmac_f32 v45, v49, v40
	s_delay_alu instid0(VALU_DEP_2) | instskip(NEXT) | instid1(VALU_DEP_2)
	v_dual_fmac_f32 v47, v51, v43 :: v_dual_fmac_f32 v48, v52, v44
	v_dual_fma_f32 v32, -v32, v45, v33 :: v_dual_fma_f32 v33, -v34, v46, v35
	s_delay_alu instid0(VALU_DEP_2) | instskip(NEXT) | instid1(VALU_DEP_1)
	v_dual_fma_f32 v34, -v36, v47, v37 :: v_dual_fma_f32 v35, -v38, v48, v39
	v_div_fmas_f32 v34, v34, v43, v47
	s_mov_b32 vcc_lo, s4
	s_delay_alu instid0(VALU_DEP_2) | instskip(SKIP_1) | instid1(VALU_DEP_2)
	v_div_fmas_f32 v35, v35, v44, v48
	s_mov_b32 vcc_lo, s2
	v_div_fixup_f32 v29, v34, v42, v29
	v_div_fmas_f32 v32, v32, v40, v45
	s_mov_b32 vcc_lo, s3
	v_div_fixup_f32 v28, v35, v42, v28
	v_div_fmas_f32 v33, v33, v41, v46
	s_delay_alu instid0(VALU_DEP_3) | instskip(NEXT) | instid1(VALU_DEP_3)
	v_div_fixup_f32 v31, v32, v42, v31
	v_pk_add_f32 v[10:11], v[10:11], v[28:29]
	s_delay_alu instid0(VALU_DEP_3) | instskip(NEXT) | instid1(VALU_DEP_1)
	v_div_fixup_f32 v30, v33, v42, v30
	v_pk_add_f32 v[12:13], v[12:13], v[30:31]
	s_cbranch_scc0 .LBB2_7
	s_branch .LBB2_2
.LBB2_8:
	v_mov_b32_e32 v10, 0
	s_delay_alu instid0(VALU_DEP_1)
	v_dual_mov_b32 v11, v10 :: v_dual_mov_b32 v12, v10
	v_mov_b32_e32 v13, v10
.LBB2_9:
	s_load_b64 s[0:1], s[0:1], 0x40
	s_wait_kmcnt 0x0
	v_lshl_add_u64 v[0:1], v[18:19], 4, s[0:1]
	global_store_b128 v[0:1], v[10:13], off
	s_endpgm
	.section	.rodata,"a",@progbits
	.p2align	6, 0x0
	.amdhsa_kernel _Z4mdh3PKfS0_S0_S0_S0_S0_S0_S0_Pfffi
		.amdhsa_group_segment_fixed_size 0
		.amdhsa_private_segment_fixed_size 0
		.amdhsa_kernarg_size 344
		.amdhsa_user_sgpr_count 2
		.amdhsa_user_sgpr_dispatch_ptr 0
		.amdhsa_user_sgpr_queue_ptr 0
		.amdhsa_user_sgpr_kernarg_segment_ptr 1
		.amdhsa_user_sgpr_dispatch_id 0
		.amdhsa_user_sgpr_kernarg_preload_length 0
		.amdhsa_user_sgpr_kernarg_preload_offset 0
		.amdhsa_user_sgpr_private_segment_size 0
		.amdhsa_wavefront_size32 1
		.amdhsa_uses_dynamic_stack 0
		.amdhsa_enable_private_segment 0
		.amdhsa_system_sgpr_workgroup_id_x 1
		.amdhsa_system_sgpr_workgroup_id_y 0
		.amdhsa_system_sgpr_workgroup_id_z 0
		.amdhsa_system_sgpr_workgroup_info 0
		.amdhsa_system_vgpr_workitem_id 0
		.amdhsa_next_free_vgpr 58
		.amdhsa_next_free_sgpr 26
		.amdhsa_named_barrier_count 0
		.amdhsa_reserve_vcc 1
		.amdhsa_float_round_mode_32 0
		.amdhsa_float_round_mode_16_64 0
		.amdhsa_float_denorm_mode_32 3
		.amdhsa_float_denorm_mode_16_64 3
		.amdhsa_fp16_overflow 0
		.amdhsa_memory_ordered 1
		.amdhsa_forward_progress 1
		.amdhsa_inst_pref_size 15
		.amdhsa_round_robin_scheduling 0
		.amdhsa_exception_fp_ieee_invalid_op 0
		.amdhsa_exception_fp_denorm_src 0
		.amdhsa_exception_fp_ieee_div_zero 0
		.amdhsa_exception_fp_ieee_overflow 0
		.amdhsa_exception_fp_ieee_underflow 0
		.amdhsa_exception_fp_ieee_inexact 0
		.amdhsa_exception_int_div_zero 0
	.end_amdhsa_kernel
	.text
.Lfunc_end2:
	.size	_Z4mdh3PKfS0_S0_S0_S0_S0_S0_S0_Pfffi, .Lfunc_end2-_Z4mdh3PKfS0_S0_S0_S0_S0_S0_S0_Pfffi
                                        ; -- End function
	.set _Z4mdh3PKfS0_S0_S0_S0_S0_S0_S0_Pfffi.num_vgpr, 58
	.set _Z4mdh3PKfS0_S0_S0_S0_S0_S0_S0_Pfffi.num_agpr, 0
	.set _Z4mdh3PKfS0_S0_S0_S0_S0_S0_S0_Pfffi.numbered_sgpr, 26
	.set _Z4mdh3PKfS0_S0_S0_S0_S0_S0_S0_Pfffi.num_named_barrier, 0
	.set _Z4mdh3PKfS0_S0_S0_S0_S0_S0_S0_Pfffi.private_seg_size, 0
	.set _Z4mdh3PKfS0_S0_S0_S0_S0_S0_S0_Pfffi.uses_vcc, 1
	.set _Z4mdh3PKfS0_S0_S0_S0_S0_S0_S0_Pfffi.uses_flat_scratch, 0
	.set _Z4mdh3PKfS0_S0_S0_S0_S0_S0_S0_Pfffi.has_dyn_sized_stack, 0
	.set _Z4mdh3PKfS0_S0_S0_S0_S0_S0_S0_Pfffi.has_recursion, 0
	.set _Z4mdh3PKfS0_S0_S0_S0_S0_S0_S0_Pfffi.has_indirect_call, 0
	.section	.AMDGPU.csdata,"",@progbits
; Kernel info:
; codeLenInByte = 1904
; TotalNumSgprs: 28
; NumVgprs: 58
; ScratchSize: 0
; MemoryBound: 0
; FloatMode: 240
; IeeeMode: 1
; LDSByteSize: 0 bytes/workgroup (compile time only)
; SGPRBlocks: 0
; VGPRBlocks: 3
; NumSGPRsForWavesPerEU: 28
; NumVGPRsForWavesPerEU: 58
; NamedBarCnt: 0
; Occupancy: 16
; WaveLimiterHint : 0
; COMPUTE_PGM_RSRC2:SCRATCH_EN: 0
; COMPUTE_PGM_RSRC2:USER_SGPR: 2
; COMPUTE_PGM_RSRC2:TRAP_HANDLER: 0
; COMPUTE_PGM_RSRC2:TGID_X_EN: 1
; COMPUTE_PGM_RSRC2:TGID_Y_EN: 0
; COMPUTE_PGM_RSRC2:TGID_Z_EN: 0
; COMPUTE_PGM_RSRC2:TIDIG_COMP_CNT: 0
	.text
	.p2alignl 7, 3214868480
	.fill 96, 4, 3214868480
	.section	.AMDGPU.gpr_maximums,"",@progbits
	.set amdgpu.max_num_vgpr, 0
	.set amdgpu.max_num_agpr, 0
	.set amdgpu.max_num_sgpr, 0
	.text
	.type	__hip_cuid_907db0b2d422f9f3,@object ; @__hip_cuid_907db0b2d422f9f3
	.section	.bss,"aw",@nobits
	.globl	__hip_cuid_907db0b2d422f9f3
__hip_cuid_907db0b2d422f9f3:
	.byte	0                               ; 0x0
	.size	__hip_cuid_907db0b2d422f9f3, 1

	.ident	"AMD clang version 22.0.0git (https://github.com/RadeonOpenCompute/llvm-project roc-7.2.4 26084 f58b06dce1f9c15707c5f808fd002e18c2accf7e)"
	.section	".note.GNU-stack","",@progbits
	.addrsig
	.addrsig_sym __hip_cuid_907db0b2d422f9f3
	.amdgpu_metadata
---
amdhsa.kernels:
  - .args:
      - .actual_access:  read_only
        .address_space:  global
        .offset:         0
        .size:           8
        .value_kind:     global_buffer
      - .actual_access:  read_only
        .address_space:  global
        .offset:         8
        .size:           8
        .value_kind:     global_buffer
      - .actual_access:  read_only
        .address_space:  global
        .offset:         16
        .size:           8
        .value_kind:     global_buffer
      - .actual_access:  read_only
        .address_space:  global
        .offset:         24
        .size:           8
        .value_kind:     global_buffer
      - .actual_access:  read_only
        .address_space:  global
        .offset:         32
        .size:           8
        .value_kind:     global_buffer
      - .actual_access:  read_only
        .address_space:  global
        .offset:         40
        .size:           8
        .value_kind:     global_buffer
      - .actual_access:  read_only
        .address_space:  global
        .offset:         48
        .size:           8
        .value_kind:     global_buffer
      - .actual_access:  read_only
        .address_space:  global
        .offset:         56
        .size:           8
        .value_kind:     global_buffer
      - .actual_access:  write_only
        .address_space:  global
        .offset:         64
        .size:           8
        .value_kind:     global_buffer
      - .offset:         72
        .size:           4
        .value_kind:     by_value
      - .offset:         76
        .size:           4
        .value_kind:     by_value
      - .offset:         80
        .size:           4
        .value_kind:     by_value
      - .offset:         88
        .size:           4
        .value_kind:     hidden_block_count_x
      - .offset:         92
        .size:           4
        .value_kind:     hidden_block_count_y
      - .offset:         96
        .size:           4
        .value_kind:     hidden_block_count_z
      - .offset:         100
        .size:           2
        .value_kind:     hidden_group_size_x
      - .offset:         102
        .size:           2
        .value_kind:     hidden_group_size_y
      - .offset:         104
        .size:           2
        .value_kind:     hidden_group_size_z
      - .offset:         106
        .size:           2
        .value_kind:     hidden_remainder_x
      - .offset:         108
        .size:           2
        .value_kind:     hidden_remainder_y
      - .offset:         110
        .size:           2
        .value_kind:     hidden_remainder_z
      - .offset:         128
        .size:           8
        .value_kind:     hidden_global_offset_x
      - .offset:         136
        .size:           8
        .value_kind:     hidden_global_offset_y
      - .offset:         144
        .size:           8
        .value_kind:     hidden_global_offset_z
      - .offset:         152
        .size:           2
        .value_kind:     hidden_grid_dims
      - .offset:         208
        .size:           4
        .value_kind:     hidden_dynamic_lds_size
    .group_segment_fixed_size: 0
    .kernarg_segment_align: 8
    .kernarg_segment_size: 344
    .language:       OpenCL C
    .language_version:
      - 2
      - 0
    .max_flat_workgroup_size: 1024
    .name:           _Z3mdhPKfS0_S0_S0_S0_S0_S0_S0_Pfffi
    .private_segment_fixed_size: 0
    .sgpr_count:     31
    .sgpr_spill_count: 0
    .symbol:         _Z3mdhPKfS0_S0_S0_S0_S0_S0_S0_Pfffi.kd
    .uniform_work_group_size: 1
    .uses_dynamic_stack: false
    .vgpr_count:     63
    .vgpr_spill_count: 0
    .wavefront_size: 32
  - .args:
      - .actual_access:  read_only
        .address_space:  global
        .offset:         0
        .size:           8
        .value_kind:     global_buffer
      - .actual_access:  read_only
        .address_space:  global
        .offset:         8
        .size:           8
        .value_kind:     global_buffer
      - .actual_access:  read_only
        .address_space:  global
        .offset:         16
        .size:           8
        .value_kind:     global_buffer
      - .actual_access:  read_only
        .address_space:  global
        .offset:         24
        .size:           8
        .value_kind:     global_buffer
      - .actual_access:  read_only
        .address_space:  global
        .offset:         32
        .size:           8
        .value_kind:     global_buffer
      - .actual_access:  read_only
        .address_space:  global
        .offset:         40
        .size:           8
        .value_kind:     global_buffer
      - .actual_access:  read_only
        .address_space:  global
        .offset:         48
        .size:           8
        .value_kind:     global_buffer
      - .actual_access:  read_only
        .address_space:  global
        .offset:         56
        .size:           8
        .value_kind:     global_buffer
      - .actual_access:  write_only
        .address_space:  global
        .offset:         64
        .size:           8
        .value_kind:     global_buffer
      - .offset:         72
        .size:           4
        .value_kind:     by_value
      - .offset:         76
        .size:           4
        .value_kind:     by_value
      - .offset:         80
        .size:           4
        .value_kind:     by_value
      - .offset:         88
        .size:           4
        .value_kind:     hidden_block_count_x
      - .offset:         92
        .size:           4
        .value_kind:     hidden_block_count_y
      - .offset:         96
        .size:           4
        .value_kind:     hidden_block_count_z
      - .offset:         100
        .size:           2
        .value_kind:     hidden_group_size_x
      - .offset:         102
        .size:           2
        .value_kind:     hidden_group_size_y
      - .offset:         104
        .size:           2
        .value_kind:     hidden_group_size_z
      - .offset:         106
        .size:           2
        .value_kind:     hidden_remainder_x
      - .offset:         108
        .size:           2
        .value_kind:     hidden_remainder_y
      - .offset:         110
        .size:           2
        .value_kind:     hidden_remainder_z
      - .offset:         128
        .size:           8
        .value_kind:     hidden_global_offset_x
      - .offset:         136
        .size:           8
        .value_kind:     hidden_global_offset_y
      - .offset:         144
        .size:           8
        .value_kind:     hidden_global_offset_z
      - .offset:         152
        .size:           2
        .value_kind:     hidden_grid_dims
      - .offset:         208
        .size:           4
        .value_kind:     hidden_dynamic_lds_size
    .group_segment_fixed_size: 0
    .kernarg_segment_align: 8
    .kernarg_segment_size: 344
    .language:       OpenCL C
    .language_version:
      - 2
      - 0
    .max_flat_workgroup_size: 1024
    .name:           _Z4mdh2PKfS0_S0_S0_S0_S0_S0_S0_Pfffi
    .private_segment_fixed_size: 0
    .sgpr_count:     25
    .sgpr_spill_count: 0
    .symbol:         _Z4mdh2PKfS0_S0_S0_S0_S0_S0_S0_Pfffi.kd
    .uniform_work_group_size: 1
    .uses_dynamic_stack: false
    .vgpr_count:     41
    .vgpr_spill_count: 0
    .wavefront_size: 32
  - .args:
      - .actual_access:  read_only
        .address_space:  global
        .offset:         0
        .size:           8
        .value_kind:     global_buffer
      - .actual_access:  read_only
        .address_space:  global
        .offset:         8
        .size:           8
        .value_kind:     global_buffer
      - .actual_access:  read_only
        .address_space:  global
        .offset:         16
        .size:           8
        .value_kind:     global_buffer
      - .actual_access:  read_only
        .address_space:  global
        .offset:         24
        .size:           8
        .value_kind:     global_buffer
      - .actual_access:  read_only
        .address_space:  global
        .offset:         32
        .size:           8
        .value_kind:     global_buffer
      - .actual_access:  read_only
        .address_space:  global
        .offset:         40
        .size:           8
        .value_kind:     global_buffer
      - .actual_access:  read_only
        .address_space:  global
        .offset:         48
        .size:           8
        .value_kind:     global_buffer
      - .actual_access:  read_only
        .address_space:  global
        .offset:         56
        .size:           8
        .value_kind:     global_buffer
      - .actual_access:  write_only
        .address_space:  global
        .offset:         64
        .size:           8
        .value_kind:     global_buffer
      - .offset:         72
        .size:           4
        .value_kind:     by_value
      - .offset:         76
        .size:           4
        .value_kind:     by_value
      - .offset:         80
        .size:           4
        .value_kind:     by_value
      - .offset:         88
        .size:           4
        .value_kind:     hidden_block_count_x
      - .offset:         92
        .size:           4
        .value_kind:     hidden_block_count_y
      - .offset:         96
        .size:           4
        .value_kind:     hidden_block_count_z
      - .offset:         100
        .size:           2
        .value_kind:     hidden_group_size_x
      - .offset:         102
        .size:           2
        .value_kind:     hidden_group_size_y
      - .offset:         104
        .size:           2
        .value_kind:     hidden_group_size_z
      - .offset:         106
        .size:           2
        .value_kind:     hidden_remainder_x
      - .offset:         108
        .size:           2
        .value_kind:     hidden_remainder_y
      - .offset:         110
        .size:           2
        .value_kind:     hidden_remainder_z
      - .offset:         128
        .size:           8
        .value_kind:     hidden_global_offset_x
      - .offset:         136
        .size:           8
        .value_kind:     hidden_global_offset_y
      - .offset:         144
        .size:           8
        .value_kind:     hidden_global_offset_z
      - .offset:         152
        .size:           2
        .value_kind:     hidden_grid_dims
      - .offset:         208
        .size:           4
        .value_kind:     hidden_dynamic_lds_size
    .group_segment_fixed_size: 0
    .kernarg_segment_align: 8
    .kernarg_segment_size: 344
    .language:       OpenCL C
    .language_version:
      - 2
      - 0
    .max_flat_workgroup_size: 1024
    .name:           _Z4mdh3PKfS0_S0_S0_S0_S0_S0_S0_Pfffi
    .private_segment_fixed_size: 0
    .sgpr_count:     28
    .sgpr_spill_count: 0
    .symbol:         _Z4mdh3PKfS0_S0_S0_S0_S0_S0_S0_Pfffi.kd
    .uniform_work_group_size: 1
    .uses_dynamic_stack: false
    .vgpr_count:     58
    .vgpr_spill_count: 0
    .wavefront_size: 32
amdhsa.target:   amdgcn-amd-amdhsa--gfx1250
amdhsa.version:
  - 1
  - 2
...

	.end_amdgpu_metadata
